;; amdgpu-corpus repo=ROCm/rocFFT kind=compiled arch=gfx1201 opt=O3
	.text
	.amdgcn_target "amdgcn-amd-amdhsa--gfx1201"
	.amdhsa_code_object_version 6
	.protected	bluestein_single_back_len1008_dim1_dp_op_CI_CI ; -- Begin function bluestein_single_back_len1008_dim1_dp_op_CI_CI
	.globl	bluestein_single_back_len1008_dim1_dp_op_CI_CI
	.p2align	8
	.type	bluestein_single_back_len1008_dim1_dp_op_CI_CI,@function
bluestein_single_back_len1008_dim1_dp_op_CI_CI: ; @bluestein_single_back_len1008_dim1_dp_op_CI_CI
; %bb.0:
	s_load_b128 s[12:15], s[0:1], 0x28
	v_mul_u32_u24_e32 v1, 0x493, v0
	s_mov_b32 s2, exec_lo
	v_mov_b32_e32 v5, 0
	s_delay_alu instid0(VALU_DEP_2) | instskip(NEXT) | instid1(VALU_DEP_1)
	v_lshrrev_b32_e32 v1, 16, v1
	v_add_nc_u32_e32 v4, ttmp9, v1
	s_wait_kmcnt 0x0
	s_delay_alu instid0(VALU_DEP_1)
	v_cmpx_gt_u64_e64 s[12:13], v[4:5]
	s_cbranch_execz .LBB0_10
; %bb.1:
	s_clause 0x1
	s_load_b128 s[4:7], s[0:1], 0x18
	s_load_b128 s[8:11], s[0:1], 0x0
	v_mul_lo_u16 v1, v1, 56
	s_mov_b32 s13, 0xbfebb67a
                                        ; implicit-def: $vgpr248_vgpr249
                                        ; implicit-def: $vgpr144_vgpr145
	v_mov_b32_e32 v5, v4
	s_delay_alu instid0(VALU_DEP_2) | instskip(SKIP_2) | instid1(VALU_DEP_1)
	v_sub_nc_u16 v50, v0, v1
	scratch_store_b64 off, v[5:6], off offset:4 ; 8-byte Folded Spill
	v_and_b32_e32 v70, 0xffff, v50
	v_or_b32_e32 v65, 0x1c0, v70
	v_lshlrev_b32_e32 v66, 4, v70
	s_wait_kmcnt 0x0
	s_load_b128 s[16:19], s[4:5], 0x0
	s_movk_i32 s4, 0xe400
	s_mov_b32 s5, -1
	global_load_b128 v[34:37], v66, s[8:9]
	s_wait_kmcnt 0x0
	v_mad_co_u64_u32 v[0:1], null, s18, v4, 0
	v_mad_co_u64_u32 v[2:3], null, s16, v70, 0
	;; [unrolled: 1-line block ×3, first 2 shown]
	s_mul_u64 s[2:3], s[16:17], 0x1f80
	s_mul_u64 s[4:5], s[16:17], s[4:5]
	s_delay_alu instid0(VALU_DEP_2) | instskip(NEXT) | instid1(VALU_DEP_2)
	v_mad_co_u64_u32 v[4:5], null, s19, v4, v[1:2]
	v_mad_co_u64_u32 v[9:10], null, s17, v65, v[9:10]
	s_delay_alu instid0(VALU_DEP_2) | instskip(SKIP_2) | instid1(VALU_DEP_4)
	v_mad_co_u64_u32 v[5:6], null, s17, v70, v[3:4]
	v_mov_b32_e32 v1, v4
	v_or_b32_e32 v6, 0x380, v70
	v_lshlrev_b64_e32 v[8:9], 4, v[8:9]
	s_delay_alu instid0(VALU_DEP_3) | instskip(SKIP_1) | instid1(VALU_DEP_4)
	v_lshlrev_b64_e32 v[0:1], 4, v[0:1]
	v_mov_b32_e32 v3, v5
	v_mad_co_u64_u32 v[4:5], null, s16, v6, 0
	scratch_store_b32 off, v6, off offset:12 ; 4-byte Folded Spill
	v_lshlrev_b64_e32 v[2:3], 4, v[2:3]
	v_add_co_u32 v11, vcc_lo, s14, v0
	v_add_co_ci_u32_e32 v14, vcc_lo, s15, v1, vcc_lo
	v_mad_co_u64_u32 v[5:6], null, s17, v6, v[5:6]
	s_delay_alu instid0(VALU_DEP_3) | instskip(SKIP_1) | instid1(VALU_DEP_3)
	v_add_co_u32 v12, vcc_lo, v11, v2
	s_wait_alu 0xfffd
	v_add_co_ci_u32_e32 v13, vcc_lo, v14, v3, vcc_lo
	s_delay_alu instid0(VALU_DEP_3)
	v_lshlrev_b64_e32 v[4:5], 4, v[4:5]
	global_load_b128 v[0:3], v[12:13], off
	v_add_co_u32 v4, vcc_lo, v11, v4
	s_wait_alu 0xfffd
	v_add_co_ci_u32_e32 v5, vcc_lo, v14, v5, vcc_lo
	global_load_b128 v[30:33], v66, s[8:9] offset:14336
	global_load_b128 v[4:7], v[4:5], off
	v_add_co_u32 v8, vcc_lo, v11, v8
	s_wait_alu 0xfffd
	v_add_co_ci_u32_e32 v9, vcc_lo, v14, v9, vcc_lo
	global_load_b128 v[38:41], v66, s[8:9] offset:7168
	;; [unrolled: 5-line block ×5, first 2 shown]
	global_load_b128 v[20:23], v[24:25], off
	global_load_b128 v[84:87], v66, s[8:9] offset:15232
	s_wait_loadcnt 0xc
	scratch_store_b128 off, v[34:37], off offset:36 ; 16-byte Folded Spill
	s_wait_loadcnt 0xb
	v_mul_f64_e32 v[28:29], v[0:1], v[36:37]
	v_mul_f64_e32 v[26:27], v[2:3], v[36:37]
	s_wait_loadcnt 0xa
	scratch_store_b128 off, v[30:33], off offset:20 ; 16-byte Folded Spill
	s_wait_loadcnt 0x8
	scratch_store_b128 off, v[38:41], off offset:52 ; 16-byte Folded Spill
	s_wait_loadcnt 0x6
	scratch_store_b128 off, v[42:45], off offset:84 ; 16-byte Folded Spill
	s_wait_loadcnt 0x4
	scratch_store_b128 off, v[46:49], off offset:100 ; 16-byte Folded Spill
	s_wait_loadcnt 0x2
	scratch_store_b128 off, v[51:54], off offset:116 ; 16-byte Folded Spill
	v_fma_f64 v[2:3], v[2:3], v[34:35], -v[28:29]
	v_mul_f64_e32 v[28:29], v[4:5], v[32:33]
	v_fma_f64 v[0:1], v[0:1], v[34:35], v[26:27]
	v_mul_f64_e32 v[26:27], v[6:7], v[32:33]
	s_delay_alu instid0(VALU_DEP_3) | instskip(SKIP_1) | instid1(VALU_DEP_3)
	v_fma_f64 v[6:7], v[6:7], v[30:31], -v[28:29]
	v_mul_f64_e32 v[28:29], v[8:9], v[40:41]
	v_fma_f64 v[4:5], v[4:5], v[30:31], v[26:27]
	v_mul_f64_e32 v[26:27], v[10:11], v[40:41]
	s_delay_alu instid0(VALU_DEP_3) | instskip(SKIP_1) | instid1(VALU_DEP_3)
	v_fma_f64 v[10:11], v[10:11], v[38:39], -v[28:29]
	v_mul_f64_e32 v[28:29], v[12:13], v[44:45]
	v_fma_f64 v[8:9], v[8:9], v[38:39], v[26:27]
	v_mul_f64_e32 v[26:27], v[14:15], v[44:45]
	global_load_b128 v[38:41], v66, s[8:9] offset:9856
	v_fma_f64 v[14:15], v[14:15], v[42:43], -v[28:29]
	v_mul_f64_e32 v[28:29], v[16:17], v[48:49]
	v_fma_f64 v[12:13], v[12:13], v[42:43], v[26:27]
	v_mul_f64_e32 v[26:27], v[18:19], v[48:49]
	s_delay_alu instid0(VALU_DEP_3) | instskip(SKIP_2) | instid1(VALU_DEP_3)
	v_fma_f64 v[18:19], v[18:19], v[46:47], -v[28:29]
	s_wait_loadcnt 0x2
	v_mul_f64_e32 v[28:29], v[20:21], v[53:54]
	v_fma_f64 v[16:17], v[16:17], v[46:47], v[26:27]
	v_mul_f64_e32 v[26:27], v[22:23], v[53:54]
	s_delay_alu instid0(VALU_DEP_3) | instskip(SKIP_3) | instid1(VALU_DEP_4)
	v_fma_f64 v[22:23], v[22:23], v[51:52], -v[28:29]
	v_add_co_u32 v28, vcc_lo, v24, s4
	s_wait_alu 0xfffd
	v_add_co_ci_u32_e32 v29, vcc_lo, s5, v25, vcc_lo
	v_fma_f64 v[20:21], v[20:21], v[51:52], v[26:27]
	global_load_b128 v[24:27], v[28:29], off
	s_clause 0x1
	global_load_b128 v[34:37], v66, s[8:9] offset:1792
	global_load_b128 v[42:45], v66, s[8:9] offset:2688
	s_wait_loadcnt 0x3
	scratch_store_b128 off, v[38:41], off offset:228 ; 16-byte Folded Spill
	s_wait_loadcnt 0x1
	v_mul_f64_e32 v[32:33], v[24:25], v[36:37]
	s_wait_loadcnt 0x0
	scratch_store_b128 off, v[42:45], off offset:244 ; 16-byte Folded Spill
	v_mul_f64_e32 v[30:31], v[26:27], v[36:37]
	scratch_store_b128 off, v[34:37], off offset:260 ; 16-byte Folded Spill
	v_fma_f64 v[26:27], v[26:27], v[34:35], -v[32:33]
	v_add_co_u32 v32, vcc_lo, v28, s2
	s_wait_alu 0xfffd
	v_add_co_ci_u32_e32 v33, vcc_lo, s3, v29, vcc_lo
	v_fma_f64 v[24:25], v[24:25], v[34:35], v[30:31]
	global_load_b128 v[28:31], v[32:33], off
	s_wait_loadcnt 0x0
	v_mul_f64_e32 v[36:37], v[28:29], v[40:41]
	v_mul_f64_e32 v[34:35], v[30:31], v[40:41]
	s_delay_alu instid0(VALU_DEP_2) | instskip(SKIP_3) | instid1(VALU_DEP_4)
	v_fma_f64 v[30:31], v[30:31], v[38:39], -v[36:37]
	v_add_co_u32 v36, vcc_lo, v32, s4
	s_wait_alu 0xfffd
	v_add_co_ci_u32_e32 v37, vcc_lo, s5, v33, vcc_lo
	v_fma_f64 v[28:29], v[28:29], v[38:39], v[34:35]
	global_load_b128 v[32:35], v[36:37], off
	s_wait_loadcnt 0x0
	v_mul_f64_e32 v[40:41], v[32:33], v[44:45]
	v_mul_f64_e32 v[38:39], v[34:35], v[44:45]
	s_delay_alu instid0(VALU_DEP_2) | instskip(SKIP_3) | instid1(VALU_DEP_4)
	v_fma_f64 v[34:35], v[34:35], v[42:43], -v[40:41]
	v_add_co_u32 v40, vcc_lo, v36, s2
	s_wait_alu 0xfffd
	v_add_co_ci_u32_e32 v41, vcc_lo, s3, v37, vcc_lo
	v_fma_f64 v[32:33], v[32:33], v[42:43], v[38:39]
	global_load_b128 v[36:39], v[40:41], off
	s_clause 0x1
	global_load_b128 v[46:49], v66, s[8:9] offset:10752
	global_load_b128 v[55:58], v66, s[8:9] offset:11648
	s_wait_loadcnt 0x1
	v_mul_f64_e32 v[44:45], v[36:37], v[48:49]
	v_mul_f64_e32 v[42:43], v[38:39], v[48:49]
	scratch_store_b128 off, v[46:49], off offset:292 ; 16-byte Folded Spill
	v_fma_f64 v[38:39], v[38:39], v[46:47], -v[44:45]
	v_add_co_u32 v44, vcc_lo, v40, s4
	s_wait_alu 0xfffd
	v_add_co_ci_u32_e32 v45, vcc_lo, s5, v41, vcc_lo
	v_fma_f64 v[36:37], v[36:37], v[46:47], v[42:43]
	global_load_b128 v[40:43], v[44:45], off
	s_clause 0x1
	global_load_b128 v[51:54], v66, s[8:9] offset:3584
	global_load_b128 v[59:62], v66, s[8:9] offset:4480
	s_wait_loadcnt 0x3
	scratch_store_b128 off, v[55:58], off offset:164 ; 16-byte Folded Spill
	s_wait_loadcnt 0x1
	v_mul_f64_e32 v[48:49], v[40:41], v[53:54]
	s_wait_loadcnt 0x0
	scratch_store_b128 off, v[59:62], off offset:132 ; 16-byte Folded Spill
	v_mul_f64_e32 v[46:47], v[42:43], v[53:54]
	scratch_store_b128 off, v[51:54], off offset:276 ; 16-byte Folded Spill
	v_fma_f64 v[42:43], v[42:43], v[51:52], -v[48:49]
	v_add_co_u32 v48, vcc_lo, v44, s2
	s_wait_alu 0xfffd
	v_add_co_ci_u32_e32 v49, vcc_lo, s3, v45, vcc_lo
	v_fma_f64 v[40:41], v[40:41], v[51:52], v[46:47]
	global_load_b128 v[44:47], v[48:49], off
	v_add_co_u32 v48, vcc_lo, v48, s4
	s_wait_alu 0xfffd
	v_add_co_ci_u32_e32 v49, vcc_lo, s5, v49, vcc_lo
	s_wait_loadcnt 0x0
	v_mul_f64_e32 v[51:52], v[46:47], v[57:58]
	v_mul_f64_e32 v[53:54], v[44:45], v[57:58]
	s_delay_alu instid0(VALU_DEP_2) | instskip(NEXT) | instid1(VALU_DEP_2)
	v_fma_f64 v[44:45], v[44:45], v[55:56], v[51:52]
	v_fma_f64 v[46:47], v[46:47], v[55:56], -v[53:54]
	global_load_b128 v[51:54], v[48:49], off
	v_add_co_u32 v48, vcc_lo, v48, s2
	s_wait_alu 0xfffd
	v_add_co_ci_u32_e32 v49, vcc_lo, s3, v49, vcc_lo
	s_wait_loadcnt 0x0
	v_mul_f64_e32 v[55:56], v[53:54], v[61:62]
	v_mul_f64_e32 v[57:58], v[51:52], v[61:62]
	s_delay_alu instid0(VALU_DEP_2) | instskip(NEXT) | instid1(VALU_DEP_2)
	v_fma_f64 v[51:52], v[51:52], v[59:60], v[55:56]
	v_fma_f64 v[53:54], v[53:54], v[59:60], -v[57:58]
	global_load_b128 v[55:58], v[48:49], off
	s_clause 0x1
	global_load_b128 v[71:74], v66, s[8:9] offset:12544
	global_load_b128 v[76:79], v66, s[8:9] offset:13440
	v_add_co_u32 v48, vcc_lo, v48, s4
	s_wait_alu 0xfffd
	v_add_co_ci_u32_e32 v49, vcc_lo, s5, v49, vcc_lo
	s_wait_loadcnt 0x1
	v_mul_f64_e32 v[59:60], v[57:58], v[73:74]
	v_mul_f64_e32 v[61:62], v[55:56], v[73:74]
	scratch_store_b128 off, v[71:74], off offset:196 ; 16-byte Folded Spill
	v_fma_f64 v[55:56], v[55:56], v[71:72], v[59:60]
	v_fma_f64 v[57:58], v[57:58], v[71:72], -v[61:62]
	global_load_b128 v[59:62], v[48:49], off
	s_clause 0x1
	global_load_b128 v[71:74], v66, s[8:9] offset:5376
	global_load_b128 v[80:83], v66, s[8:9] offset:6272
	v_add_co_u32 v48, vcc_lo, v48, s2
	s_wait_alu 0xfffd
	v_add_co_ci_u32_e32 v49, vcc_lo, s3, v49, vcc_lo
	s_mov_b32 s2, 0xe8584caa
	s_mov_b32 s3, 0x3febb67a
	s_wait_alu 0xfffe
	s_mov_b32 s12, s2
	s_wait_loadcnt 0x3
	s_clause 0x1
	scratch_store_b128 off, v[76:79], off offset:180
	scratch_store_b128 off, v[84:87], off offset:68
	s_wait_loadcnt 0x1
	v_mul_f64_e32 v[63:64], v[61:62], v[73:74]
	v_mul_f64_e32 v[67:68], v[59:60], v[73:74]
	scratch_store_b128 off, v[71:74], off offset:212 ; 16-byte Folded Spill
	s_wait_loadcnt 0x0
	scratch_store_b128 off, v[80:83], off offset:148 ; 16-byte Folded Spill
	v_fma_f64 v[59:60], v[59:60], v[71:72], v[63:64]
	v_fma_f64 v[61:62], v[61:62], v[71:72], -v[67:68]
	global_load_b128 v[72:75], v[48:49], off
	v_add_co_u32 v48, vcc_lo, v48, s4
	s_wait_alu 0xfffd
	v_add_co_ci_u32_e32 v49, vcc_lo, s5, v49, vcc_lo
	v_cmp_gt_u16_e32 vcc_lo, 48, v50
	s_wait_loadcnt 0x0
	v_mul_f64_e32 v[63:64], v[74:75], v[78:79]
	v_mul_f64_e32 v[67:68], v[72:73], v[78:79]
	s_delay_alu instid0(VALU_DEP_2) | instskip(NEXT) | instid1(VALU_DEP_2)
	v_fma_f64 v[72:73], v[72:73], v[76:77], v[63:64]
	v_fma_f64 v[74:75], v[74:75], v[76:77], -v[67:68]
	global_load_b128 v[76:79], v[48:49], off
	v_mad_co_u64_u32 v[48:49], null, 0x2300, s16, v[48:49]
	s_wait_loadcnt 0x0
	v_mul_f64_e32 v[63:64], v[78:79], v[82:83]
	v_mul_f64_e32 v[67:68], v[76:77], v[82:83]
	s_delay_alu instid0(VALU_DEP_2) | instskip(NEXT) | instid1(VALU_DEP_4)
	v_fma_f64 v[76:77], v[76:77], v[80:81], v[63:64]
	v_mad_co_u64_u32 v[63:64], null, 0x2300, s17, v[49:50]
	s_delay_alu instid0(VALU_DEP_3) | instskip(SKIP_1) | instid1(VALU_DEP_3)
	v_fma_f64 v[78:79], v[78:79], v[80:81], -v[67:68]
	v_add_co_u32 v67, null, 0x70, v70
	v_mov_b32_e32 v49, v63
	global_load_b128 v[80:83], v[48:49], off
	s_wait_loadcnt 0x0
	v_mul_f64_e32 v[48:49], v[82:83], v[86:87]
	v_mul_f64_e32 v[63:64], v[80:81], v[86:87]
	s_delay_alu instid0(VALU_DEP_2) | instskip(NEXT) | instid1(VALU_DEP_2)
	v_fma_f64 v[80:81], v[80:81], v[84:85], v[48:49]
	v_fma_f64 v[82:83], v[82:83], v[84:85], -v[63:64]
	ds_store_b128 v66, v[8:11] offset:7168
	ds_store_b128 v66, v[12:15] offset:8064
	ds_store_b128 v66, v[0:3]
	ds_store_b128 v66, v[16:19] offset:896
	ds_store_b128 v66, v[20:23] offset:8960
	;; [unrolled: 1-line block ×15, first 2 shown]
	s_load_b128 s[4:7], s[6:7], 0x0
	global_wb scope:SCOPE_SE
	s_wait_storecnt_dscnt 0x0
	s_wait_kmcnt 0x0
	s_barrier_signal -1
	s_barrier_wait -1
	global_inv scope:SCOPE_SE
	ds_load_b128 v[0:3], v66 offset:8064
	ds_load_b128 v[4:7], v66
	ds_load_b128 v[8:11], v66 offset:896
	ds_load_b128 v[12:15], v66 offset:7168
	;; [unrolled: 1-line block ×12, first 2 shown]
	v_lshlrev_b32_e32 v48, 5, v70
	s_wait_dscnt 0xc
	v_add_f64_e64 v[0:1], v[4:5], -v[0:1]
	v_add_f64_e64 v[2:3], v[6:7], -v[2:3]
	s_wait_dscnt 0x9
	v_add_f64_e64 v[16:17], v[8:9], -v[16:17]
	v_add_f64_e64 v[18:19], v[10:11], -v[18:19]
	;; [unrolled: 3-line block ×4, first 2 shown]
	ds_load_b128 v[51:54], v66 offset:5376
	ds_load_b128 v[72:75], v66 offset:6272
	v_add_f64_e64 v[32:33], v[28:29], -v[32:33]
	v_add_f64_e64 v[34:35], v[30:31], -v[34:35]
	;; [unrolled: 1-line block ×4, first 2 shown]
	ds_load_b128 v[76:79], v66 offset:14336
	ds_load_b128 v[80:83], v66 offset:15232
	global_wb scope:SCOPE_SE
	s_wait_dscnt 0x0
	s_barrier_signal -1
	s_barrier_wait -1
	global_inv scope:SCOPE_SE
	v_add_f64_e64 v[57:58], v[53:54], -v[57:58]
	v_add_f64_e64 v[55:56], v[51:52], -v[55:56]
	;; [unrolled: 1-line block ×4, first 2 shown]
	v_fma_f64 v[4:5], v[4:5], 2.0, -v[0:1]
	v_fma_f64 v[6:7], v[6:7], 2.0, -v[2:3]
	;; [unrolled: 1-line block ×8, first 2 shown]
	ds_store_b128 v48, v[0:3] offset:16
	v_fma_f64 v[28:29], v[28:29], 2.0, -v[32:33]
	v_fma_f64 v[30:31], v[30:31], 2.0, -v[34:35]
	;; [unrolled: 1-line block ×4, first 2 shown]
	v_lshlrev_b32_e32 v2, 1, v70
	s_delay_alu instid0(VALU_DEP_1) | instskip(SKIP_4) | instid1(VALU_DEP_3)
	v_lshlrev_b32_e32 v3, 4, v2
	v_fma_f64 v[86:87], v[53:54], 2.0, -v[57:58]
	v_add_co_u32 v54, null, v70, 56
	v_fma_f64 v[84:85], v[51:52], 2.0, -v[55:56]
	v_add_co_u32 v53, null, 0xa8, v70
	v_lshlrev_b32_e32 v0, 5, v54
	v_fma_f64 v[72:73], v[72:73], 2.0, -v[76:77]
	v_fma_f64 v[74:75], v[74:75], 2.0, -v[78:79]
	v_add_co_u32 v52, null, 0xe0, v70
	scratch_store_b32 off, v0, off offset:336 ; 4-byte Folded Spill
	ds_store_b128 v48, v[4:7]
	ds_store_b128 v0, v[16:19] offset:16
	ds_store_b128 v0, v[8:11]
	v_lshlrev_b32_e32 v0, 5, v67
	v_add_co_u32 v51, null, 0x118, v70
	v_add_f64_e64 v[5:6], v[14:15], -v[82:83]
	ds_store_b128 v0, v[24:27]
	ds_store_b128 v0, v[20:23] offset:16
	scratch_store_b32 off, v0, off offset:332 ; 4-byte Folded Spill
	v_lshlrev_b32_e32 v0, 5, v53
	ds_store_b128 v0, v[28:31]
	ds_store_b128 v0, v[32:35] offset:16
	scratch_store_b32 off, v0, off offset:328 ; 4-byte Folded Spill
	v_lshlrev_b32_e32 v0, 5, v52
	;; [unrolled: 4-line block ×3, first 2 shown]
	ds_store_b128 v0, v[44:47]
	ds_store_b128 v0, v[59:62] offset:16
	scratch_store_b32 off, v0, off offset:320 ; 4-byte Folded Spill
	v_add_nc_u32_e32 v0, 0x2a0, v2
	s_delay_alu instid0(VALU_DEP_1)
	v_lshlrev_b32_e32 v1, 4, v0
	ds_store_b128 v3, v[84:87] offset:10752
	v_fma_f64 v[9:10], v[14:15], 2.0, -v[5:6]
	ds_store_b128 v1, v[55:58] offset:16
	scratch_store_b32 off, v1, off offset:316 ; 4-byte Folded Spill
	v_add_nc_u32_e32 v1, 0x310, v2
	s_delay_alu instid0(VALU_DEP_1)
	v_lshlrev_b32_e32 v11, 4, v1
	ds_store_b128 v3, v[72:75] offset:12544
	v_add_f64_e64 v[3:4], v[12:13], -v[80:81]
	ds_store_b128 v11, v[76:79] offset:16
	scratch_store_b32 off, v11, off offset:312 ; 4-byte Folded Spill
	v_lshlrev_b32_e32 v11, 5, v65
	s_clause 0x1
	scratch_store_b32 off, v48, off offset:340
	scratch_store_b32 off, v11, off offset:308
	v_fma_f64 v[7:8], v[12:13], 2.0, -v[3:4]
	ds_store_b128 v11, v[3:6] offset:16
	ds_store_b128 v11, v[7:10]
	v_and_b32_e32 v9, 1, v70
	global_wb scope:SCOPE_SE
	s_wait_storecnt_dscnt 0x0
	s_barrier_signal -1
	s_barrier_wait -1
	global_inv scope:SCOPE_SE
	v_lshlrev_b32_e32 v3, 4, v9
	global_load_b128 v[72:75], v3, s[10:11]
	ds_load_b128 v[76:79], v66 offset:8064
	ds_load_b128 v[3:6], v66 offset:7168
	s_wait_loadcnt_dscnt 0x1
	v_mul_f64_e32 v[10:11], v[76:77], v[74:75]
	v_mul_f64_e32 v[7:8], v[78:79], v[74:75]
	s_delay_alu instid0(VALU_DEP_2)
	v_fma_f64 v[20:21], v[78:79], v[72:73], v[10:11]
	ds_load_b128 v[10:13], v66 offset:8960
	ds_load_b128 v[14:17], v66 offset:9856
	v_fma_f64 v[7:8], v[76:77], v[72:73], -v[7:8]
	s_wait_dscnt 0x1
	v_mul_f64_e32 v[18:19], v[12:13], v[74:75]
	s_delay_alu instid0(VALU_DEP_1) | instskip(SKIP_1) | instid1(VALU_DEP_1)
	v_fma_f64 v[22:23], v[10:11], v[72:73], -v[18:19]
	v_mul_f64_e32 v[10:11], v[10:11], v[74:75]
	v_fma_f64 v[24:25], v[12:13], v[72:73], v[10:11]
	s_wait_dscnt 0x0
	v_mul_f64_e32 v[10:11], v[16:17], v[74:75]
	s_delay_alu instid0(VALU_DEP_1) | instskip(SKIP_1) | instid1(VALU_DEP_1)
	v_fma_f64 v[34:35], v[14:15], v[72:73], -v[10:11]
	v_mul_f64_e32 v[10:11], v[14:15], v[74:75]
	v_fma_f64 v[36:37], v[16:17], v[72:73], v[10:11]
	ds_load_b128 v[10:13], v66 offset:10752
	ds_load_b128 v[14:17], v66 offset:11648
	s_wait_dscnt 0x1
	v_mul_f64_e32 v[18:19], v[12:13], v[74:75]
	s_delay_alu instid0(VALU_DEP_1) | instskip(SKIP_1) | instid1(VALU_DEP_1)
	v_fma_f64 v[38:39], v[10:11], v[72:73], -v[18:19]
	v_mul_f64_e32 v[10:11], v[10:11], v[74:75]
	v_fma_f64 v[40:41], v[12:13], v[72:73], v[10:11]
	s_wait_dscnt 0x0
	v_mul_f64_e32 v[10:11], v[16:17], v[74:75]
	s_delay_alu instid0(VALU_DEP_1) | instskip(SKIP_1) | instid1(VALU_DEP_1)
	v_fma_f64 v[55:56], v[14:15], v[72:73], -v[10:11]
	v_mul_f64_e32 v[10:11], v[14:15], v[74:75]
	v_fma_f64 v[57:58], v[16:17], v[72:73], v[10:11]
	ds_load_b128 v[10:13], v66 offset:12544
	ds_load_b128 v[14:17], v66 offset:13440
	;; [unrolled: 14-line block ×3, first 2 shown]
	s_wait_dscnt 0x1
	v_mul_f64_e32 v[18:19], v[12:13], v[74:75]
	s_delay_alu instid0(VALU_DEP_1) | instskip(SKIP_1) | instid1(VALU_DEP_1)
	v_fma_f64 v[88:89], v[10:11], v[72:73], -v[18:19]
	v_mul_f64_e32 v[10:11], v[10:11], v[74:75]
	v_fma_f64 v[90:91], v[12:13], v[72:73], v[10:11]
	s_wait_dscnt 0x0
	v_mul_f64_e32 v[10:11], v[16:17], v[74:75]
	s_delay_alu instid0(VALU_DEP_1) | instskip(SKIP_1) | instid1(VALU_DEP_2)
	v_fma_f64 v[92:93], v[14:15], v[72:73], -v[10:11]
	v_mul_f64_e32 v[10:11], v[14:15], v[74:75]
	v_add_f64_e64 v[92:93], v[3:4], -v[92:93]
	s_delay_alu instid0(VALU_DEP_2)
	v_fma_f64 v[94:95], v[16:17], v[72:73], v[10:11]
	ds_load_b128 v[10:13], v66
	ds_load_b128 v[14:17], v66 offset:896
	ds_load_b128 v[26:29], v66 offset:1792
	ds_load_b128 v[30:33], v66 offset:2688
	ds_load_b128 v[42:45], v66 offset:3584
	ds_load_b128 v[46:49], v66 offset:4480
	ds_load_b128 v[76:79], v66 offset:5376
	ds_load_b128 v[80:83], v66 offset:6272
	global_wb scope:SCOPE_SE
	s_wait_dscnt 0x0
	s_barrier_signal -1
	s_barrier_wait -1
	global_inv scope:SCOPE_SE
	v_add_f64_e64 v[18:19], v[10:11], -v[7:8]
	v_add_f64_e64 v[20:21], v[12:13], -v[20:21]
	v_add_f64_e64 v[22:23], v[14:15], -v[22:23]
	v_add_f64_e64 v[24:25], v[16:17], -v[24:25]
	v_add_f64_e64 v[34:35], v[26:27], -v[34:35]
	v_add_f64_e64 v[36:37], v[28:29], -v[36:37]
	v_add_f64_e64 v[38:39], v[30:31], -v[38:39]
	v_add_f64_e64 v[40:41], v[32:33], -v[40:41]
	v_add_f64_e64 v[55:56], v[42:43], -v[55:56]
	v_add_f64_e64 v[57:58], v[44:45], -v[57:58]
	v_add_f64_e64 v[59:60], v[46:47], -v[59:60]
	v_add_f64_e64 v[61:62], v[48:49], -v[61:62]
	v_add_f64_e64 v[84:85], v[76:77], -v[63:64]
	v_add_f64_e64 v[86:87], v[78:79], -v[68:69]
	v_add_f64_e64 v[88:89], v[80:81], -v[88:89]
	v_add_f64_e64 v[90:91], v[82:83], -v[90:91]
	v_fma_f64 v[96:97], v[3:4], 2.0, -v[92:93]
	v_add_f64_e64 v[94:95], v[5:6], -v[94:95]
	v_and_or_b32 v3, 0x7c, v2, v9
	s_delay_alu instid0(VALU_DEP_1)
	v_lshlrev_b32_e32 v3, 4, v3
	scratch_store_b32 off, v3, off offset:368 ; 4-byte Folded Spill
	v_fma_f64 v[10:11], v[10:11], 2.0, -v[18:19]
	v_fma_f64 v[12:13], v[12:13], 2.0, -v[20:21]
	;; [unrolled: 1-line block ×6, first 2 shown]
	ds_store_b128 v3, v[18:21] offset:32
	v_fma_f64 v[30:31], v[30:31], 2.0, -v[38:39]
	v_fma_f64 v[32:33], v[32:33], 2.0, -v[40:41]
	;; [unrolled: 1-line block ×11, first 2 shown]
	ds_store_b128 v3, v[10:13]
	v_lshlrev_b32_e32 v3, 1, v54
	s_delay_alu instid0(VALU_DEP_1) | instskip(NEXT) | instid1(VALU_DEP_1)
	v_and_or_b32 v4, 0xfc, v3, v9
	v_lshlrev_b32_e32 v4, 4, v4
	ds_store_b128 v4, v[14:17]
	ds_store_b128 v4, v[22:25] offset:32
	scratch_store_b32 off, v4, off offset:376 ; 4-byte Folded Spill
	v_lshlrev_b32_e32 v4, 1, v67
	s_delay_alu instid0(VALU_DEP_1) | instskip(NEXT) | instid1(VALU_DEP_1)
	v_and_or_b32 v5, 0x1fc, v4, v9
	v_lshlrev_b32_e32 v5, 4, v5
	ds_store_b128 v5, v[26:29]
	ds_store_b128 v5, v[34:37] offset:32
	scratch_store_b32 off, v5, off offset:372 ; 4-byte Folded Spill
	;; [unrolled: 7-line block ×5, first 2 shown]
	v_and_or_b32 v8, 0x3fc, v0, v9
	s_delay_alu instid0(VALU_DEP_1) | instskip(SKIP_4) | instid1(VALU_DEP_1)
	v_lshlrev_b32_e32 v8, 4, v8
	ds_store_b128 v8, v[76:79]
	ds_store_b128 v8, v[84:87] offset:32
	scratch_store_b32 off, v8, off offset:352 ; 4-byte Folded Spill
	v_and_or_b32 v8, 0x3fc, v1, v9
	v_lshlrev_b32_e32 v8, 4, v8
	ds_store_b128 v8, v[80:83]
	ds_store_b128 v8, v[88:91] offset:32
	scratch_store_b32 off, v8, off offset:348 ; 4-byte Folded Spill
	v_lshlrev_b32_e32 v8, 1, v65
	s_delay_alu instid0(VALU_DEP_1) | instskip(NEXT) | instid1(VALU_DEP_1)
	v_and_or_b32 v9, 0x3fc, v8, v9
	v_lshlrev_b32_e32 v9, 4, v9
	s_clause 0x1
	scratch_store_b32 off, v65, off offset:16
	scratch_store_b32 off, v9, off offset:344
	ds_store_b128 v9, v[96:99]
	ds_store_b128 v9, v[92:95] offset:32
	v_and_b32_e32 v9, 3, v70
	global_wb scope:SCOPE_SE
	s_wait_storecnt_dscnt 0x0
	s_barrier_signal -1
	s_barrier_wait -1
	global_inv scope:SCOPE_SE
	v_lshlrev_b32_e32 v10, 4, v9
	global_load_b128 v[76:79], v10, s[10:11] offset:32
	ds_load_b128 v[80:83], v66 offset:8064
	ds_load_b128 v[10:13], v66 offset:7168
	s_wait_loadcnt_dscnt 0x1
	v_mul_f64_e32 v[14:15], v[82:83], v[78:79]
	s_delay_alu instid0(VALU_DEP_1) | instskip(SKIP_1) | instid1(VALU_DEP_1)
	v_fma_f64 v[22:23], v[80:81], v[76:77], -v[14:15]
	v_mul_f64_e32 v[14:15], v[80:81], v[78:79]
	v_fma_f64 v[24:25], v[82:83], v[76:77], v[14:15]
	ds_load_b128 v[14:17], v66 offset:8960
	ds_load_b128 v[18:21], v66 offset:9856
	s_wait_dscnt 0x1
	v_mul_f64_e32 v[26:27], v[16:17], v[78:79]
	s_delay_alu instid0(VALU_DEP_1) | instskip(SKIP_1) | instid1(VALU_DEP_1)
	v_fma_f64 v[26:27], v[14:15], v[76:77], -v[26:27]
	v_mul_f64_e32 v[14:15], v[14:15], v[78:79]
	v_fma_f64 v[28:29], v[16:17], v[76:77], v[14:15]
	s_wait_dscnt 0x0
	v_mul_f64_e32 v[14:15], v[20:21], v[78:79]
	s_delay_alu instid0(VALU_DEP_1) | instskip(SKIP_1) | instid1(VALU_DEP_1)
	v_fma_f64 v[38:39], v[18:19], v[76:77], -v[14:15]
	v_mul_f64_e32 v[14:15], v[18:19], v[78:79]
	v_fma_f64 v[40:41], v[20:21], v[76:77], v[14:15]
	ds_load_b128 v[14:17], v66 offset:10752
	ds_load_b128 v[18:21], v66 offset:11648
	s_wait_dscnt 0x1
	v_mul_f64_e32 v[30:31], v[16:17], v[78:79]
	s_delay_alu instid0(VALU_DEP_1) | instskip(SKIP_1) | instid1(VALU_DEP_1)
	v_fma_f64 v[42:43], v[14:15], v[76:77], -v[30:31]
	v_mul_f64_e32 v[14:15], v[14:15], v[78:79]
	v_fma_f64 v[44:45], v[16:17], v[76:77], v[14:15]
	s_wait_dscnt 0x0
	;; [unrolled: 14-line block ×4, first 2 shown]
	v_mul_f64_e32 v[14:15], v[20:21], v[78:79]
	s_delay_alu instid0(VALU_DEP_1) | instskip(SKIP_1) | instid1(VALU_DEP_2)
	v_fma_f64 v[100:101], v[18:19], v[76:77], -v[14:15]
	v_mul_f64_e32 v[14:15], v[18:19], v[78:79]
	v_add_f64_e64 v[100:101], v[10:11], -v[100:101]
	s_delay_alu instid0(VALU_DEP_2)
	v_fma_f64 v[102:103], v[20:21], v[76:77], v[14:15]
	ds_load_b128 v[14:17], v66
	ds_load_b128 v[18:21], v66 offset:896
	ds_load_b128 v[30:33], v66 offset:1792
	;; [unrolled: 1-line block ×7, first 2 shown]
	global_wb scope:SCOPE_SE
	s_wait_dscnt 0x0
	s_barrier_signal -1
	s_barrier_wait -1
	global_inv scope:SCOPE_SE
	v_add_f64_e64 v[22:23], v[14:15], -v[22:23]
	v_add_f64_e64 v[24:25], v[16:17], -v[24:25]
	;; [unrolled: 1-line block ×14, first 2 shown]
	v_and_or_b32 v63, 0x78, v2, v9
	v_add_f64_e64 v[96:97], v[88:89], -v[96:97]
	v_add_f64_e64 v[98:99], v[90:91], -v[98:99]
	v_fma_f64 v[10:11], v[10:11], 2.0, -v[100:101]
	v_add_f64_e64 v[102:103], v[12:13], -v[102:103]
	v_lshlrev_b32_e32 v63, 4, v63
	v_fma_f64 v[14:15], v[14:15], 2.0, -v[22:23]
	v_fma_f64 v[16:17], v[16:17], 2.0, -v[24:25]
	;; [unrolled: 1-line block ×8, first 2 shown]
	ds_store_b128 v63, v[22:25] offset:64
	v_fma_f64 v[46:47], v[46:47], 2.0, -v[59:60]
	v_fma_f64 v[48:49], v[48:49], 2.0, -v[61:62]
	;; [unrolled: 1-line block ×9, first 2 shown]
	ds_store_b128 v63, v[14:17]
	v_and_or_b32 v14, 0xf8, v3, v9
	s_delay_alu instid0(VALU_DEP_1) | instskip(SKIP_4) | instid1(VALU_DEP_1)
	v_lshlrev_b32_e32 v14, 4, v14
	ds_store_b128 v14, v[18:21]
	ds_store_b128 v14, v[26:29] offset:64
	scratch_store_b32 off, v14, off offset:468 ; 4-byte Folded Spill
	v_and_or_b32 v14, 0x1f8, v4, v9
	v_lshlrev_b32_e32 v14, 4, v14
	ds_store_b128 v14, v[30:33]
	ds_store_b128 v14, v[38:41] offset:64
	scratch_store_b32 off, v14, off offset:464 ; 4-byte Folded Spill
	v_and_or_b32 v14, 0x1f8, v5, v9
	s_delay_alu instid0(VALU_DEP_1) | instskip(SKIP_4) | instid1(VALU_DEP_1)
	v_lshlrev_b32_e32 v14, 4, v14
	ds_store_b128 v14, v[34:37]
	ds_store_b128 v14, v[42:45] offset:64
	scratch_store_b32 off, v14, off offset:456 ; 4-byte Folded Spill
	v_and_or_b32 v14, 0x3f8, v6, v9
	v_lshlrev_b32_e32 v14, 4, v14
	ds_store_b128 v14, v[46:49]
	ds_store_b128 v14, v[59:62] offset:64
	scratch_store_b32 off, v14, off offset:452 ; 4-byte Folded Spill
	;; [unrolled: 11-line block ×3, first 2 shown]
	v_and_or_b32 v14, 0x3f8, v1, v9
	v_and_or_b32 v9, 0x3f8, v8, v9
	s_delay_alu instid0(VALU_DEP_2) | instskip(NEXT) | instid1(VALU_DEP_2)
	v_lshlrev_b32_e32 v14, 4, v14
	v_lshlrev_b32_e32 v9, 4, v9
	s_clause 0x2
	scratch_store_b32 off, v63, off offset:460
	scratch_store_b32 off, v14, off offset:440
	;; [unrolled: 1-line block ×3, first 2 shown]
	ds_store_b128 v14, v[88:91]
	ds_store_b128 v14, v[96:99] offset:64
	ds_store_b128 v9, v[10:13]
	ds_store_b128 v9, v[100:103] offset:64
	v_and_b32_e32 v9, 7, v70
	global_wb scope:SCOPE_SE
	s_wait_storecnt_dscnt 0x0
	s_barrier_signal -1
	s_barrier_wait -1
	global_inv scope:SCOPE_SE
	v_lshlrev_b32_e32 v10, 4, v9
	v_and_or_b32 v2, 0x70, v2, v9
	v_and_or_b32 v0, 0x3f0, v0, v9
	global_load_b128 v[80:83], v10, s[10:11] offset:96
	ds_load_b128 v[84:87], v66 offset:8064
	ds_load_b128 v[10:13], v66 offset:7168
	v_lshlrev_b32_e32 v2, 4, v2
	v_lshlrev_b32_e32 v0, 4, v0
	s_wait_loadcnt_dscnt 0x1
	v_mul_f64_e32 v[14:15], v[86:87], v[82:83]
	s_delay_alu instid0(VALU_DEP_1) | instskip(SKIP_1) | instid1(VALU_DEP_1)
	v_fma_f64 v[22:23], v[84:85], v[80:81], -v[14:15]
	v_mul_f64_e32 v[14:15], v[84:85], v[82:83]
	v_fma_f64 v[24:25], v[86:87], v[80:81], v[14:15]
	ds_load_b128 v[14:17], v66 offset:8960
	ds_load_b128 v[18:21], v66 offset:9856
	s_wait_dscnt 0x1
	v_mul_f64_e32 v[26:27], v[16:17], v[82:83]
	s_delay_alu instid0(VALU_DEP_1) | instskip(SKIP_1) | instid1(VALU_DEP_1)
	v_fma_f64 v[26:27], v[14:15], v[80:81], -v[26:27]
	v_mul_f64_e32 v[14:15], v[14:15], v[82:83]
	v_fma_f64 v[28:29], v[16:17], v[80:81], v[14:15]
	s_wait_dscnt 0x0
	v_mul_f64_e32 v[14:15], v[20:21], v[82:83]
	s_delay_alu instid0(VALU_DEP_1) | instskip(SKIP_1) | instid1(VALU_DEP_1)
	v_fma_f64 v[38:39], v[18:19], v[80:81], -v[14:15]
	v_mul_f64_e32 v[14:15], v[18:19], v[82:83]
	v_fma_f64 v[40:41], v[20:21], v[80:81], v[14:15]
	ds_load_b128 v[14:17], v66 offset:10752
	ds_load_b128 v[18:21], v66 offset:11648
	s_wait_dscnt 0x1
	v_mul_f64_e32 v[30:31], v[16:17], v[82:83]
	s_delay_alu instid0(VALU_DEP_1) | instskip(SKIP_1) | instid1(VALU_DEP_1)
	v_fma_f64 v[42:43], v[14:15], v[80:81], -v[30:31]
	v_mul_f64_e32 v[14:15], v[14:15], v[82:83]
	v_fma_f64 v[44:45], v[16:17], v[80:81], v[14:15]
	s_wait_dscnt 0x0
	;; [unrolled: 14-line block ×4, first 2 shown]
	v_mul_f64_e32 v[14:15], v[20:21], v[82:83]
	s_delay_alu instid0(VALU_DEP_1) | instskip(SKIP_1) | instid1(VALU_DEP_2)
	v_fma_f64 v[104:105], v[18:19], v[80:81], -v[14:15]
	v_mul_f64_e32 v[14:15], v[18:19], v[82:83]
	v_add_f64_e64 v[104:105], v[10:11], -v[104:105]
	s_delay_alu instid0(VALU_DEP_2)
	v_fma_f64 v[106:107], v[20:21], v[80:81], v[14:15]
	ds_load_b128 v[14:17], v66
	ds_load_b128 v[18:21], v66 offset:896
	ds_load_b128 v[30:33], v66 offset:1792
	;; [unrolled: 1-line block ×7, first 2 shown]
	global_wb scope:SCOPE_SE
	s_wait_dscnt 0x0
	s_barrier_signal -1
	s_barrier_wait -1
	global_inv scope:SCOPE_SE
	s_clause 0x1
	scratch_store_b32 off, v2, off offset:504
	scratch_store_b32 off, v0, off offset:488
	v_add_f64_e64 v[22:23], v[14:15], -v[22:23]
	v_add_f64_e64 v[24:25], v[16:17], -v[24:25]
	;; [unrolled: 1-line block ×16, first 2 shown]
	v_fma_f64 v[10:11], v[10:11], 2.0, -v[104:105]
	v_add_f64_e64 v[106:107], v[12:13], -v[106:107]
	v_fma_f64 v[14:15], v[14:15], 2.0, -v[22:23]
	v_fma_f64 v[16:17], v[16:17], 2.0, -v[24:25]
	;; [unrolled: 1-line block ×8, first 2 shown]
	ds_store_b128 v2, v[22:25] offset:128
	v_fma_f64 v[46:47], v[46:47], 2.0, -v[59:60]
	v_fma_f64 v[48:49], v[48:49], 2.0, -v[61:62]
	;; [unrolled: 1-line block ×9, first 2 shown]
	ds_store_b128 v2, v[14:17]
	v_and_or_b32 v2, 0xf0, v3, v9
	s_delay_alu instid0(VALU_DEP_1) | instskip(SKIP_4) | instid1(VALU_DEP_1)
	v_lshlrev_b32_e32 v2, 4, v2
	ds_store_b128 v2, v[18:21]
	ds_store_b128 v2, v[26:29] offset:128
	scratch_store_b32 off, v2, off offset:512 ; 4-byte Folded Spill
	v_and_or_b32 v2, 0x1f0, v4, v9
	v_lshlrev_b32_e32 v2, 4, v2
	ds_store_b128 v2, v[30:33]
	ds_store_b128 v2, v[38:41] offset:128
	scratch_store_b32 off, v2, off offset:508 ; 4-byte Folded Spill
	v_and_or_b32 v2, 0x1f0, v5, v9
	s_delay_alu instid0(VALU_DEP_1) | instskip(SKIP_4) | instid1(VALU_DEP_1)
	v_lshlrev_b32_e32 v2, 4, v2
	ds_store_b128 v2, v[34:37]
	ds_store_b128 v2, v[42:45] offset:128
	scratch_store_b32 off, v2, off offset:500 ; 4-byte Folded Spill
	v_and_or_b32 v2, 0x3f0, v6, v9
	v_lshlrev_b32_e32 v2, 4, v2
	ds_store_b128 v2, v[46:49]
	ds_store_b128 v2, v[59:62] offset:128
	scratch_store_b32 off, v2, off offset:496 ; 4-byte Folded Spill
	v_and_or_b32 v2, 0x2f0, v7, v9
	s_delay_alu instid0(VALU_DEP_1)
	v_lshlrev_b32_e32 v2, 4, v2
	ds_store_b128 v2, v[55:58]
	ds_store_b128 v2, v[84:87] offset:128
	ds_store_b128 v0, v[88:91]
	ds_store_b128 v0, v[96:99] offset:128
	v_and_or_b32 v0, 0x3f0, v1, v9
	v_and_b32_e32 v55, 15, v70
	v_and_b32_e32 v57, 15, v54
	;; [unrolled: 1-line block ×4, first 2 shown]
	v_lshlrev_b32_e32 v0, 4, v0
	s_delay_alu instid0(VALU_DEP_3) | instskip(SKIP_4) | instid1(VALU_DEP_1)
	v_lshlrev_b32_e32 v38, 5, v56
	ds_store_b128 v0, v[92:95]
	ds_store_b128 v0, v[100:103] offset:128
	scratch_store_b32 off, v0, off offset:484 ; 4-byte Folded Spill
	v_and_or_b32 v0, 0x3f0, v8, v9
	v_lshlrev_b32_e32 v0, 4, v0
	s_clause 0x1
	scratch_store_b32 off, v2, off offset:492
	scratch_store_b32 off, v0, off offset:480
	ds_store_b128 v0, v[10:13]
	ds_store_b128 v0, v[104:107] offset:128
	v_lshlrev_b32_e32 v0, 5, v55
	global_wb scope:SCOPE_SE
	s_wait_storecnt_dscnt 0x0
	s_barrier_signal -1
	s_barrier_wait -1
	global_inv scope:SCOPE_SE
	s_clause 0x1
	global_load_b128 v[84:87], v0, s[10:11] offset:224
	global_load_b128 v[88:91], v0, s[10:11] offset:240
	ds_load_b128 v[4:7], v66 offset:5376
	ds_load_b128 v[8:11], v66 offset:6272
	;; [unrolled: 1-line block ×4, first 2 shown]
	s_wait_loadcnt_dscnt 0x103
	v_mul_f64_e32 v[0:1], v[6:7], v[86:87]
	s_delay_alu instid0(VALU_DEP_1) | instskip(SKIP_1) | instid1(VALU_DEP_1)
	v_fma_f64 v[2:3], v[4:5], v[84:85], -v[0:1]
	v_mul_f64_e32 v[0:1], v[4:5], v[86:87]
	v_fma_f64 v[4:5], v[6:7], v[84:85], v[0:1]
	s_wait_loadcnt_dscnt 0x1
	v_mul_f64_e32 v[0:1], v[16:17], v[90:91]
	s_delay_alu instid0(VALU_DEP_1) | instskip(SKIP_1) | instid1(VALU_DEP_1)
	v_fma_f64 v[12:13], v[14:15], v[88:89], -v[0:1]
	v_mul_f64_e32 v[0:1], v[14:15], v[90:91]
	v_fma_f64 v[16:17], v[16:17], v[88:89], v[0:1]
	v_lshlrev_b32_e32 v0, 5, v57
	s_clause 0x1
	global_load_b64 v[14:15], v0, s[10:11] offset:224
	global_load_b128 v[92:95], v38, s[10:11] offset:224
	v_add_f64_e32 v[68:69], v[4:5], v[16:17]
	s_wait_loadcnt 0x1
	scratch_store_b64 off, v[14:15], off offset:380 ; 8-byte Folded Spill
	s_clause 0x1
	global_load_b128 v[100:103], v38, s[10:11] offset:240
	global_load_b128 v[96:99], v38, s[10:11] offset:232
	s_wait_loadcnt 0x2
	v_mul_f64_e32 v[0:1], v[10:11], v[94:95]
	s_delay_alu instid0(VALU_DEP_1) | instskip(SKIP_1) | instid1(VALU_DEP_1)
	v_fma_f64 v[6:7], v[8:9], v[14:15], -v[0:1]
	v_mul_f64_e32 v[0:1], v[8:9], v[94:95]
	v_fma_f64 v[10:11], v[10:11], v[14:15], v[0:1]
	s_wait_loadcnt_dscnt 0x100
	v_mul_f64_e32 v[0:1], v[22:23], v[102:103]
	s_wait_loadcnt 0x0
	s_delay_alu instid0(VALU_DEP_1) | instskip(SKIP_1) | instid1(VALU_DEP_1)
	v_fma_f64 v[18:19], v[20:21], v[98:99], -v[0:1]
	v_mul_f64_e32 v[0:1], v[20:21], v[102:103]
	v_fma_f64 v[20:21], v[22:23], v[98:99], v[0:1]
	ds_load_b128 v[22:25], v66 offset:7168
	ds_load_b128 v[26:29], v66 offset:8064
	;; [unrolled: 1-line block ×4, first 2 shown]
	s_wait_dscnt 0x3
	v_mul_f64_e32 v[0:1], v[24:25], v[86:87]
	s_delay_alu instid0(VALU_DEP_1) | instskip(SKIP_1) | instid1(VALU_DEP_1)
	v_fma_f64 v[8:9], v[22:23], v[84:85], -v[0:1]
	v_mul_f64_e32 v[0:1], v[22:23], v[86:87]
	v_fma_f64 v[14:15], v[24:25], v[84:85], v[0:1]
	s_wait_dscnt 0x1
	v_mul_f64_e32 v[0:1], v[32:33], v[90:91]
	s_delay_alu instid0(VALU_DEP_1) | instskip(SKIP_1) | instid1(VALU_DEP_1)
	v_fma_f64 v[22:23], v[30:31], v[88:89], -v[0:1]
	v_mul_f64_e32 v[0:1], v[30:31], v[90:91]
	v_fma_f64 v[24:25], v[32:33], v[88:89], v[0:1]
	v_lshlrev_b32_e32 v0, 5, v58
	s_clause 0x2
	global_load_b64 v[63:64], v38, s[10:11] offset:248
	global_load_b128 v[112:115], v0, s[10:11] offset:224
	global_load_b128 v[108:111], v0, s[10:11] offset:240
	v_lshrrev_b32_e32 v0, 4, v70
	s_delay_alu instid0(VALU_DEP_1) | instskip(NEXT) | instid1(VALU_DEP_1)
	v_mul_u32_u24_e32 v0, 48, v0
	v_or_b32_e32 v0, v0, v55
	s_delay_alu instid0(VALU_DEP_1) | instskip(SKIP_2) | instid1(VALU_DEP_1)
	v_lshlrev_b32_e32 v0, 4, v0
	s_wait_loadcnt 0x1
	v_mul_f64_e32 v[30:31], v[28:29], v[114:115]
	v_fma_f64 v[42:43], v[26:27], v[112:113], -v[30:31]
	v_mul_f64_e32 v[26:27], v[26:27], v[114:115]
	ds_load_b128 v[30:33], v66 offset:8960
	ds_load_b128 v[59:62], v66 offset:9856
	;; [unrolled: 1-line block ×4, first 2 shown]
	s_clause 0x3
	scratch_store_b64 off, v[63:64], off offset:472
	scratch_store_b128 off, v[100:103], off offset:420
	scratch_store_b128 off, v[96:99], off offset:404
	;; [unrolled: 1-line block ×3, first 2 shown]
	v_fma_f64 v[44:45], v[28:29], v[112:113], v[26:27]
	s_wait_loadcnt_dscnt 0x4
	v_mul_f64_e32 v[26:27], v[36:37], v[110:111]
	s_delay_alu instid0(VALU_DEP_1) | instskip(SKIP_3) | instid1(VALU_DEP_2)
	v_fma_f64 v[46:47], v[34:35], v[108:109], -v[26:27]
	v_mul_f64_e32 v[26:27], v[34:35], v[110:111]
	s_wait_dscnt 0x0
	v_mul_f64_e32 v[34:35], v[106:107], v[63:64]
	v_fma_f64 v[48:49], v[36:37], v[108:109], v[26:27]
	v_mul_f64_e32 v[26:27], v[32:33], v[86:87]
	s_delay_alu instid0(VALU_DEP_3) | instskip(NEXT) | instid1(VALU_DEP_2)
	v_fma_f64 v[34:35], v[104:105], v[100:101], -v[34:35]
	v_fma_f64 v[28:29], v[30:31], v[84:85], -v[26:27]
	v_mul_f64_e32 v[26:27], v[30:31], v[86:87]
	v_mul_f64_e32 v[30:31], v[59:60], v[96:97]
	s_delay_alu instid0(VALU_DEP_2) | instskip(SKIP_1) | instid1(VALU_DEP_3)
	v_fma_f64 v[32:33], v[32:33], v[84:85], v[26:27]
	v_mul_f64_e32 v[26:27], v[40:41], v[90:91]
	v_fma_f64 v[30:31], v[61:62], v[92:93], v[30:31]
	s_delay_alu instid0(VALU_DEP_2) | instskip(SKIP_3) | instid1(VALU_DEP_3)
	v_fma_f64 v[36:37], v[38:39], v[88:89], -v[26:27]
	v_mul_f64_e32 v[26:27], v[38:39], v[90:91]
	v_mul_f64_e32 v[38:39], v[104:105], v[63:64]
	v_add_f64_e32 v[63:64], v[2:3], v[12:13]
	v_fma_f64 v[40:41], v[40:41], v[88:89], v[26:27]
	v_mul_f64_e32 v[26:27], v[61:62], v[96:97]
	s_delay_alu instid0(VALU_DEP_4) | instskip(NEXT) | instid1(VALU_DEP_2)
	v_fma_f64 v[38:39], v[106:107], v[100:101], v[38:39]
	v_fma_f64 v[26:27], v[59:60], v[92:93], -v[26:27]
	ds_load_b128 v[59:62], v66
	ds_load_b128 v[104:107], v66 offset:896
	ds_load_b128 v[120:123], v66 offset:1792
	;; [unrolled: 1-line block ×5, first 2 shown]
	global_wb scope:SCOPE_SE
	s_wait_storecnt_dscnt 0x0
	s_barrier_signal -1
	s_barrier_wait -1
	global_inv scope:SCOPE_SE
	v_fma_f64 v[63:64], v[63:64], -0.5, v[59:60]
	v_add_f64_e32 v[59:60], v[59:60], v[2:3]
	v_fma_f64 v[68:69], v[68:69], -0.5, v[61:62]
	v_add_f64_e32 v[61:62], v[61:62], v[4:5]
	v_add_f64_e64 v[4:5], v[4:5], -v[16:17]
	s_delay_alu instid0(VALU_DEP_4) | instskip(SKIP_1) | instid1(VALU_DEP_4)
	v_add_f64_e32 v[59:60], v[59:60], v[12:13]
	v_add_f64_e64 v[12:13], v[2:3], -v[12:13]
	v_add_f64_e32 v[61:62], v[61:62], v[16:17]
	s_delay_alu instid0(VALU_DEP_4)
	v_fma_f64 v[2:3], v[4:5], s[2:3], v[63:64]
	v_fma_f64 v[116:117], v[4:5], s[12:13], v[63:64]
	v_add_f64_e32 v[16:17], v[104:105], v[6:7]
	v_fma_f64 v[4:5], v[12:13], s[12:13], v[68:69]
	v_fma_f64 v[118:119], v[12:13], s[2:3], v[68:69]
	v_add_f64_e32 v[12:13], v[6:7], v[18:19]
	v_add_f64_e64 v[6:7], v[6:7], -v[18:19]
	ds_store_b128 v0, v[59:62]
	ds_store_b128 v0, v[2:5] offset:256
	scratch_store_b32 off, v0, off offset:560 ; 4-byte Folded Spill
	ds_store_b128 v0, v[116:119] offset:512
	v_fma_f64 v[63:64], v[12:13], -0.5, v[104:105]
	v_add_f64_e32 v[12:13], v[10:11], v[20:21]
	v_add_f64_e64 v[104:105], v[10:11], -v[20:21]
	v_lshrrev_b32_e32 v0, 4, v54
	s_delay_alu instid0(VALU_DEP_1) | instskip(NEXT) | instid1(VALU_DEP_1)
	v_mul_u32_u24_e32 v0, 48, v0
	v_or_b32_e32 v0, v0, v57
	s_delay_alu instid0(VALU_DEP_1)
	v_lshlrev_b32_e32 v0, 4, v0
	v_fma_f64 v[68:69], v[12:13], -0.5, v[106:107]
	v_add_f64_e32 v[12:13], v[106:107], v[10:11]
	v_add_f64_e32 v[10:11], v[16:17], v[18:19]
	v_fma_f64 v[16:17], v[104:105], s[2:3], v[63:64]
	v_fma_f64 v[104:105], v[104:105], s[12:13], v[63:64]
	;; [unrolled: 1-line block ×4, first 2 shown]
	v_add_f64_e32 v[6:7], v[8:9], v[22:23]
	v_add_f64_e32 v[12:13], v[12:13], v[20:21]
	;; [unrolled: 1-line block ×3, first 2 shown]
	ds_store_b128 v0, v[10:13]
	ds_store_b128 v0, v[16:19] offset:256
	v_fma_f64 v[20:21], v[6:7], -0.5, v[120:121]
	v_add_f64_e32 v[6:7], v[14:15], v[24:25]
	v_add_f64_e32 v[120:121], v[68:69], v[22:23]
	v_add_f64_e64 v[22:23], v[8:9], -v[22:23]
	v_add_f64_e32 v[68:69], v[124:125], v[42:43]
	scratch_store_b32 off, v0, off offset:556 ; 4-byte Folded Spill
	ds_store_b128 v0, v[104:107] offset:512
	v_lshrrev_b32_e32 v0, 4, v67
	s_delay_alu instid0(VALU_DEP_1) | instskip(NEXT) | instid1(VALU_DEP_1)
	v_mul_u32_u24_e32 v0, 48, v0
	v_or_b32_e32 v0, v0, v55
	s_delay_alu instid0(VALU_DEP_1) | instskip(SKIP_3) | instid1(VALU_DEP_3)
	v_lshlrev_b32_e32 v0, 4, v0
	v_fma_f64 v[63:64], v[6:7], -0.5, v[122:123]
	v_add_f64_e32 v[6:7], v[122:123], v[14:15]
	v_add_f64_e64 v[14:15], v[14:15], -v[24:25]
	v_fma_f64 v[8:9], v[22:23], s[12:13], v[63:64]
	s_delay_alu instid0(VALU_DEP_3) | instskip(NEXT) | instid1(VALU_DEP_3)
	v_add_f64_e32 v[122:123], v[6:7], v[24:25]
	v_fma_f64 v[6:7], v[14:15], s[2:3], v[20:21]
	v_fma_f64 v[20:21], v[14:15], s[12:13], v[20:21]
	;; [unrolled: 1-line block ×3, first 2 shown]
	v_add_f64_e32 v[14:15], v[42:43], v[46:47]
	v_add_f64_e32 v[24:25], v[44:45], v[48:49]
	;; [unrolled: 1-line block ×3, first 2 shown]
	v_add_f64_e64 v[44:45], v[44:45], -v[48:49]
	ds_store_b128 v0, v[120:123]
	ds_store_b128 v0, v[6:9] offset:256
	scratch_store_b32 off, v0, off offset:552 ; 4-byte Folded Spill
	ds_store_b128 v0, v[20:23] offset:512
	v_fma_f64 v[14:15], v[14:15], -0.5, v[124:125]
	v_fma_f64 v[24:25], v[24:25], -0.5, v[126:127]
	v_add_f64_e32 v[126:127], v[63:64], v[48:49]
	v_add_f64_e64 v[48:49], v[42:43], -v[46:47]
	v_add_f64_e32 v[124:125], v[68:69], v[46:47]
	v_add_f64_e32 v[63:64], v[130:131], v[32:33]
	;; [unrolled: 1-line block ×3, first 2 shown]
	v_lshrrev_b32_e32 v0, 4, v53
	s_delay_alu instid0(VALU_DEP_1) | instskip(NEXT) | instid1(VALU_DEP_1)
	v_mul_u32_u24_e32 v0, 48, v0
	v_or_b32_e32 v0, v0, v58
	s_delay_alu instid0(VALU_DEP_1)
	v_lshlrev_b32_e32 v0, 4, v0
	v_fma_f64 v[42:43], v[44:45], s[2:3], v[14:15]
	v_fma_f64 v[46:47], v[44:45], s[12:13], v[14:15]
	v_add_f64_e32 v[14:15], v[28:29], v[36:37]
	v_fma_f64 v[44:45], v[48:49], s[12:13], v[24:25]
	v_fma_f64 v[48:49], v[48:49], s[2:3], v[24:25]
	v_add_f64_e32 v[24:25], v[32:33], v[40:41]
	v_add_f64_e64 v[32:33], v[32:33], -v[40:41]
	v_add_f64_e64 v[28:29], v[28:29], -v[36:37]
	ds_store_b128 v0, v[124:127]
	ds_store_b128 v0, v[42:45] offset:256
	v_fma_f64 v[14:15], v[14:15], -0.5, v[128:129]
	v_add_f64_e32 v[128:129], v[68:69], v[36:37]
	v_fma_f64 v[24:25], v[24:25], -0.5, v[130:131]
	v_add_f64_e32 v[130:131], v[63:64], v[40:41]
	scratch_store_b32 off, v0, off offset:540 ; 4-byte Folded Spill
	ds_store_b128 v0, v[46:49] offset:512
	v_lshrrev_b32_e32 v0, 4, v52
	s_delay_alu instid0(VALU_DEP_1) | instskip(NEXT) | instid1(VALU_DEP_1)
	v_mul_u32_u24_e32 v0, 48, v0
	v_or_b32_e32 v0, v0, v55
	s_delay_alu instid0(VALU_DEP_1)
	v_lshlrev_b32_e32 v0, 4, v0
	v_fma_f64 v[136:137], v[32:33], s[2:3], v[14:15]
	v_fma_f64 v[140:141], v[32:33], s[12:13], v[14:15]
	;; [unrolled: 1-line block ×4, first 2 shown]
	v_add_f64_e32 v[14:15], v[26:27], v[34:35]
	v_add_f64_e32 v[24:25], v[30:31], v[38:39]
	;; [unrolled: 1-line block ×3, first 2 shown]
	v_add_f64_e64 v[32:33], v[30:31], -v[38:39]
	ds_store_b128 v0, v[128:131]
	ds_store_b128 v0, v[136:139] offset:256
	scratch_store_b32 off, v0, off offset:532 ; 4-byte Folded Spill
	ds_store_b128 v0, v[140:143] offset:512
	v_fma_f64 v[14:15], v[14:15], -0.5, v[132:133]
	v_fma_f64 v[36:37], v[24:25], -0.5, v[134:135]
	v_add_f64_e32 v[24:25], v[134:135], v[30:31]
	v_add_f64_e32 v[28:29], v[28:29], v[34:35]
	v_add_f64_e64 v[34:35], v[26:27], -v[34:35]
	v_lshrrev_b32_e32 v0, 4, v51
                                        ; implicit-def: $vgpr140_vgpr141
	s_delay_alu instid0(VALU_DEP_1) | instskip(NEXT) | instid1(VALU_DEP_1)
	v_mul_u32_u24_e32 v0, 48, v0
	v_or_b32_e32 v0, v0, v56
	s_delay_alu instid0(VALU_DEP_1)
	v_lshlrev_b32_e32 v0, 4, v0
	v_add_f64_e32 v[30:31], v[24:25], v[38:39]
	v_fma_f64 v[24:25], v[32:33], s[2:3], v[14:15]
	v_fma_f64 v[32:33], v[32:33], s[12:13], v[14:15]
	;; [unrolled: 1-line block ×4, first 2 shown]
	ds_store_b128 v0, v[28:31]
	ds_store_b128 v0, v[24:27] offset:256
	s_clause 0x1
	scratch_store_b32 off, v0, off offset:528
	scratch_store_b32 off, v70, off
	ds_store_b128 v0, v[32:35] offset:512
	v_add_co_u32 v0, s14, 0xffffffd0, v70
	s_wait_alu 0xf1ff
	v_add_co_ci_u32_e64 v1, null, 0, -1, s14
	global_wb scope:SCOPE_SE
	s_wait_storecnt_dscnt 0x0
	v_cndmask_b32_e32 v2, v0, v70, vcc_lo
	s_barrier_signal -1
	v_cndmask_b32_e64 v3, v1, 0, vcc_lo
	s_barrier_wait -1
	global_inv scope:SCOPE_SE
	v_and_b32_e32 v0, 0xff, v54
	v_lshlrev_b64_e32 v[3:4], 5, v[2:3]
	s_delay_alu instid0(VALU_DEP_2) | instskip(NEXT) | instid1(VALU_DEP_2)
	v_mul_lo_u16 v0, 0xab, v0
	v_add_co_u32 v3, vcc_lo, s10, v3
	s_wait_alu 0xfffd
	s_delay_alu instid0(VALU_DEP_3)
	v_add_co_ci_u32_e32 v4, vcc_lo, s11, v4, vcc_lo
	s_clause 0x1
	global_load_b128 v[104:107], v[3:4], off offset:736
	global_load_b128 v[132:135], v[3:4], off offset:752
	ds_load_b128 v[3:6], v66 offset:5376
	ds_load_b128 v[7:10], v66 offset:6272
	v_lshrrev_b16 v0, 13, v0
	v_cmp_lt_u16_e32 vcc_lo, 47, v50
	s_delay_alu instid0(VALU_DEP_2) | instskip(SKIP_1) | instid1(VALU_DEP_2)
	v_mul_lo_u16 v1, v0, 48
	v_and_b32_e32 v0, 0xffff, v0
	v_sub_nc_u16 v1, v54, v1
	s_delay_alu instid0(VALU_DEP_2) | instskip(NEXT) | instid1(VALU_DEP_2)
	v_mul_u32_u24_e32 v0, 0x90, v0
	v_and_b32_e32 v1, 0xff, v1
	s_delay_alu instid0(VALU_DEP_1) | instskip(SKIP_2) | instid1(VALU_DEP_1)
	v_add_lshl_u32 v0, v0, v1, 4
	s_wait_loadcnt_dscnt 0x101
	v_mul_f64_e32 v[11:12], v[5:6], v[106:107]
	v_fma_f64 v[15:16], v[3:4], v[104:105], -v[11:12]
	v_mul_f64_e32 v[3:4], v[3:4], v[106:107]
	s_delay_alu instid0(VALU_DEP_1) | instskip(SKIP_4) | instid1(VALU_DEP_1)
	v_fma_f64 v[17:18], v[5:6], v[104:105], v[3:4]
	ds_load_b128 v[3:6], v66 offset:10752
	ds_load_b128 v[11:14], v66 offset:11648
	s_wait_loadcnt_dscnt 0x1
	v_mul_f64_e32 v[19:20], v[5:6], v[134:135]
	v_fma_f64 v[19:20], v[3:4], v[132:133], -v[19:20]
	v_mul_f64_e32 v[3:4], v[3:4], v[134:135]
	s_delay_alu instid0(VALU_DEP_1)
	v_fma_f64 v[21:22], v[5:6], v[132:133], v[3:4]
	v_lshlrev_b32_e32 v3, 5, v1
	s_clause 0x1
	global_load_b128 v[160:163], v3, s[10:11] offset:736
	global_load_b128 v[148:151], v3, s[10:11] offset:752
	s_wait_loadcnt 0x1
	v_mul_f64_e32 v[3:4], v[9:10], v[162:163]
	s_delay_alu instid0(VALU_DEP_1) | instskip(SKIP_1) | instid1(VALU_DEP_1)
	v_fma_f64 v[23:24], v[7:8], v[160:161], -v[3:4]
	v_mul_f64_e32 v[3:4], v[7:8], v[162:163]
	v_fma_f64 v[25:26], v[9:10], v[160:161], v[3:4]
	s_wait_loadcnt_dscnt 0x0
	v_mul_f64_e32 v[3:4], v[13:14], v[150:151]
	s_delay_alu instid0(VALU_DEP_1) | instskip(SKIP_1) | instid1(VALU_DEP_1)
	v_fma_f64 v[27:28], v[11:12], v[148:149], -v[3:4]
	v_mul_f64_e32 v[3:4], v[11:12], v[150:151]
	v_fma_f64 v[29:30], v[13:14], v[148:149], v[3:4]
	v_and_b32_e32 v3, 0xff, v67
	s_delay_alu instid0(VALU_DEP_1) | instskip(NEXT) | instid1(VALU_DEP_1)
	v_mul_lo_u16 v3, 0xab, v3
	v_lshrrev_b16 v49, 13, v3
	s_delay_alu instid0(VALU_DEP_1) | instskip(NEXT) | instid1(VALU_DEP_1)
	v_mul_lo_u16 v3, v49, 48
	v_sub_nc_u16 v3, v67, v3
	s_delay_alu instid0(VALU_DEP_1) | instskip(NEXT) | instid1(VALU_DEP_1)
	v_and_b32_e32 v65, 0xff, v3
	v_lshlrev_b32_e32 v3, 5, v65
	s_clause 0x1
	global_load_b128 v[156:159], v3, s[10:11] offset:736
	global_load_b128 v[152:155], v3, s[10:11] offset:752
	ds_load_b128 v[3:6], v66 offset:7168
	ds_load_b128 v[7:10], v66 offset:8064
	s_wait_loadcnt_dscnt 0x101
	v_mul_f64_e32 v[11:12], v[5:6], v[158:159]
	s_delay_alu instid0(VALU_DEP_1) | instskip(SKIP_1) | instid1(VALU_DEP_1)
	v_fma_f64 v[35:36], v[3:4], v[156:157], -v[11:12]
	v_mul_f64_e32 v[3:4], v[3:4], v[158:159]
	v_fma_f64 v[37:38], v[5:6], v[156:157], v[3:4]
	ds_load_b128 v[3:6], v66 offset:12544
	ds_load_b128 v[11:14], v66 offset:13440
	s_wait_loadcnt_dscnt 0x1
	v_mul_f64_e32 v[31:32], v[5:6], v[154:155]
	s_delay_alu instid0(VALU_DEP_1) | instskip(SKIP_1) | instid1(VALU_DEP_1)
	v_fma_f64 v[39:40], v[3:4], v[152:153], -v[31:32]
	v_mul_f64_e32 v[3:4], v[3:4], v[154:155]
	v_fma_f64 v[41:42], v[5:6], v[152:153], v[3:4]
	v_and_b32_e32 v3, 0xff, v53
	s_delay_alu instid0(VALU_DEP_1) | instskip(NEXT) | instid1(VALU_DEP_1)
	v_mul_lo_u16 v3, 0xab, v3
	v_lshrrev_b16 v70, 13, v3
	s_delay_alu instid0(VALU_DEP_1) | instskip(NEXT) | instid1(VALU_DEP_1)
	v_mul_lo_u16 v3, v70, 48
	v_sub_nc_u16 v3, v53, v3
	s_delay_alu instid0(VALU_DEP_1) | instskip(NEXT) | instid1(VALU_DEP_1)
	v_and_b32_e32 v71, 0xff, v3
	v_lshlrev_b32_e32 v3, 5, v71
	s_clause 0x1
	global_load_b128 v[172:175], v3, s[10:11] offset:736
	global_load_b128 v[164:167], v3, s[10:11] offset:752
	v_add_f64_e32 v[55:56], v[37:38], v[41:42]
	s_wait_loadcnt 0x1
	v_mul_f64_e32 v[3:4], v[9:10], v[174:175]
	s_delay_alu instid0(VALU_DEP_1) | instskip(SKIP_1) | instid1(VALU_DEP_1)
	v_fma_f64 v[43:44], v[7:8], v[172:173], -v[3:4]
	v_mul_f64_e32 v[3:4], v[7:8], v[174:175]
	v_fma_f64 v[45:46], v[9:10], v[172:173], v[3:4]
	s_wait_loadcnt_dscnt 0x0
	v_mul_f64_e32 v[3:4], v[13:14], v[166:167]
	s_delay_alu instid0(VALU_DEP_1) | instskip(SKIP_1) | instid1(VALU_DEP_1)
	v_fma_f64 v[47:48], v[11:12], v[164:165], -v[3:4]
	v_mul_f64_e32 v[3:4], v[11:12], v[166:167]
	v_fma_f64 v[53:54], v[13:14], v[164:165], v[3:4]
	v_and_b32_e32 v3, 0xffff, v52
	s_delay_alu instid0(VALU_DEP_1) | instskip(NEXT) | instid1(VALU_DEP_1)
	v_mul_u32_u24_e32 v3, 0xaaab, v3
	v_lshrrev_b32_e32 v92, 21, v3
	s_delay_alu instid0(VALU_DEP_1) | instskip(NEXT) | instid1(VALU_DEP_1)
	v_mul_lo_u16 v3, v92, 48
	v_sub_nc_u16 v93, v52, v3
	s_delay_alu instid0(VALU_DEP_1) | instskip(NEXT) | instid1(VALU_DEP_1)
	v_lshlrev_b16 v3, 5, v93
	v_and_b32_e32 v3, 0xffff, v3
	s_delay_alu instid0(VALU_DEP_1)
	v_add_co_u32 v3, s14, s10, v3
	s_wait_alu 0xf1ff
	v_add_co_ci_u32_e64 v4, null, s11, 0, s14
	s_clause 0x1
	global_load_b128 v[168:171], v[3:4], off offset:736
	global_load_b128 v[176:179], v[3:4], off offset:752
	ds_load_b128 v[3:6], v66 offset:8960
	ds_load_b128 v[7:10], v66 offset:9856
	s_wait_loadcnt_dscnt 0x101
	v_mul_f64_e32 v[11:12], v[5:6], v[170:171]
	s_delay_alu instid0(VALU_DEP_1) | instskip(SKIP_1) | instid1(VALU_DEP_1)
	v_fma_f64 v[63:64], v[3:4], v[168:169], -v[11:12]
	v_mul_f64_e32 v[3:4], v[3:4], v[170:171]
	v_fma_f64 v[68:69], v[5:6], v[168:169], v[3:4]
	ds_load_b128 v[3:6], v66 offset:14336
	ds_load_b128 v[11:14], v66 offset:15232
	s_wait_loadcnt_dscnt 0x1
	v_mul_f64_e32 v[31:32], v[5:6], v[178:179]
	s_delay_alu instid0(VALU_DEP_1) | instskip(SKIP_1) | instid1(VALU_DEP_1)
	v_fma_f64 v[120:121], v[3:4], v[176:177], -v[31:32]
	v_mul_f64_e32 v[3:4], v[3:4], v[178:179]
	v_fma_f64 v[122:123], v[5:6], v[176:177], v[3:4]
	v_and_b32_e32 v3, 0xffff, v51
	s_delay_alu instid0(VALU_DEP_1) | instskip(NEXT) | instid1(VALU_DEP_1)
	v_mul_u32_u24_e32 v3, 0xaaab, v3
	v_lshrrev_b32_e32 v94, 21, v3
	s_delay_alu instid0(VALU_DEP_1) | instskip(NEXT) | instid1(VALU_DEP_1)
	v_mul_lo_u16 v3, v94, 48
	v_sub_nc_u16 v95, v51, v3
	v_add_f64_e32 v[51:52], v[35:36], v[39:40]
	s_delay_alu instid0(VALU_DEP_2) | instskip(NEXT) | instid1(VALU_DEP_1)
	v_lshlrev_b16 v3, 5, v95
	v_and_b32_e32 v3, 0xffff, v3
	s_delay_alu instid0(VALU_DEP_1)
	v_add_co_u32 v3, s14, s10, v3
	s_wait_alu 0xf1ff
	v_add_co_ci_u32_e64 v4, null, s11, 0, s14
	s_clause 0x1
	global_load_b128 v[184:187], v[3:4], off offset:736
	global_load_b128 v[116:119], v[3:4], off offset:752
	v_add_f64_e32 v[130:131], v[68:69], v[122:123]
	s_wait_loadcnt 0x1
	v_mul_f64_e32 v[3:4], v[9:10], v[186:187]
	s_delay_alu instid0(VALU_DEP_1) | instskip(SKIP_1) | instid1(VALU_DEP_1)
	v_fma_f64 v[124:125], v[7:8], v[184:185], -v[3:4]
	v_mul_f64_e32 v[3:4], v[7:8], v[186:187]
	v_fma_f64 v[126:127], v[9:10], v[184:185], v[3:4]
	s_wait_loadcnt_dscnt 0x0
	v_mul_f64_e32 v[3:4], v[13:14], v[118:119]
	s_delay_alu instid0(VALU_DEP_1) | instskip(SKIP_2) | instid1(VALU_DEP_2)
	v_fma_f64 v[136:137], v[11:12], v[116:117], -v[3:4]
	v_mul_f64_e32 v[3:4], v[11:12], v[118:119]
	v_add_f64_e32 v[11:12], v[15:16], v[19:20]
	v_fma_f64 v[128:129], v[13:14], v[116:117], v[3:4]
	ds_load_b128 v[3:6], v66
	ds_load_b128 v[7:10], v66 offset:896
	s_wait_dscnt 0x1
	v_fma_f64 v[13:14], v[11:12], -0.5, v[3:4]
	v_add_f64_e32 v[11:12], v[17:18], v[21:22]
	v_add_f64_e32 v[3:4], v[3:4], v[15:16]
	s_delay_alu instid0(VALU_DEP_2) | instskip(SKIP_2) | instid1(VALU_DEP_4)
	v_fma_f64 v[31:32], v[11:12], -0.5, v[5:6]
	v_add_f64_e32 v[5:6], v[5:6], v[17:18]
	v_add_f64_e64 v[17:18], v[17:18], -v[21:22]
	v_add_f64_e32 v[3:4], v[3:4], v[19:20]
	v_add_f64_e64 v[19:20], v[15:16], -v[19:20]
	s_delay_alu instid0(VALU_DEP_4) | instskip(NEXT) | instid1(VALU_DEP_4)
	v_add_f64_e32 v[5:6], v[5:6], v[21:22]
	v_fma_f64 v[11:12], v[17:18], s[2:3], v[13:14]
	v_fma_f64 v[15:16], v[17:18], s[12:13], v[13:14]
	s_delay_alu instid0(VALU_DEP_4) | instskip(SKIP_3) | instid1(VALU_DEP_1)
	v_fma_f64 v[13:14], v[19:20], s[12:13], v[31:32]
	v_fma_f64 v[17:18], v[19:20], s[2:3], v[31:32]
	v_add_f64_e32 v[19:20], v[23:24], v[27:28]
	s_wait_dscnt 0x0
	v_fma_f64 v[21:22], v[19:20], -0.5, v[7:8]
	v_add_f64_e32 v[19:20], v[25:26], v[29:30]
	v_add_f64_e32 v[7:8], v[7:8], v[23:24]
	s_delay_alu instid0(VALU_DEP_2) | instskip(SKIP_2) | instid1(VALU_DEP_4)
	v_fma_f64 v[31:32], v[19:20], -0.5, v[9:10]
	v_add_f64_e32 v[9:10], v[9:10], v[25:26]
	v_add_f64_e64 v[25:26], v[25:26], -v[29:30]
	v_add_f64_e32 v[7:8], v[7:8], v[27:28]
	v_add_f64_e64 v[27:28], v[23:24], -v[27:28]
	s_delay_alu instid0(VALU_DEP_4) | instskip(NEXT) | instid1(VALU_DEP_4)
	v_add_f64_e32 v[9:10], v[9:10], v[29:30]
	v_fma_f64 v[19:20], v[25:26], s[2:3], v[21:22]
	v_fma_f64 v[23:24], v[25:26], s[12:13], v[21:22]
	s_delay_alu instid0(VALU_DEP_4)
	v_fma_f64 v[21:22], v[27:28], s[12:13], v[31:32]
	v_fma_f64 v[25:26], v[27:28], s[2:3], v[31:32]
	ds_load_b128 v[27:30], v66 offset:1792
	ds_load_b128 v[31:34], v66 offset:2688
	s_wait_dscnt 0x1
	v_fma_f64 v[51:52], v[51:52], -0.5, v[27:28]
	v_fma_f64 v[55:56], v[55:56], -0.5, v[29:30]
	v_add_f64_e32 v[29:30], v[29:30], v[37:38]
	v_add_f64_e32 v[27:28], v[27:28], v[35:36]
	v_add_f64_e64 v[37:38], v[37:38], -v[41:42]
	s_delay_alu instid0(VALU_DEP_3) | instskip(NEXT) | instid1(VALU_DEP_3)
	v_add_f64_e32 v[29:30], v[29:30], v[41:42]
	v_add_f64_e32 v[27:28], v[27:28], v[39:40]
	v_add_f64_e64 v[41:42], v[35:36], -v[39:40]
	s_delay_alu instid0(VALU_DEP_4) | instskip(SKIP_2) | instid1(VALU_DEP_4)
	v_fma_f64 v[35:36], v[37:38], s[2:3], v[51:52]
	v_fma_f64 v[39:40], v[37:38], s[12:13], v[51:52]
	v_add_f64_e32 v[51:52], v[43:44], v[47:48]
	v_fma_f64 v[37:38], v[41:42], s[12:13], v[55:56]
	v_fma_f64 v[41:42], v[41:42], s[2:3], v[55:56]
	v_add_f64_e32 v[55:56], v[45:46], v[53:54]
	s_wait_dscnt 0x0
	s_delay_alu instid0(VALU_DEP_4) | instskip(SKIP_1) | instid1(VALU_DEP_3)
	v_fma_f64 v[51:52], v[51:52], -0.5, v[31:32]
	v_add_f64_e32 v[31:32], v[31:32], v[43:44]
	v_fma_f64 v[55:56], v[55:56], -0.5, v[33:34]
	v_add_f64_e32 v[33:34], v[33:34], v[45:46]
	v_add_f64_e64 v[45:46], v[45:46], -v[53:54]
	s_delay_alu instid0(VALU_DEP_4) | instskip(SKIP_1) | instid1(VALU_DEP_4)
	v_add_f64_e32 v[31:32], v[31:32], v[47:48]
	v_add_f64_e64 v[47:48], v[43:44], -v[47:48]
	v_add_f64_e32 v[33:34], v[33:34], v[53:54]
	s_delay_alu instid0(VALU_DEP_4) | instskip(SKIP_1) | instid1(VALU_DEP_4)
	v_fma_f64 v[43:44], v[45:46], s[2:3], v[51:52]
	v_fma_f64 v[51:52], v[45:46], s[12:13], v[51:52]
	;; [unrolled: 1-line block ×4, first 2 shown]
	v_add_f64_e32 v[47:48], v[63:64], v[120:121]
	ds_load_b128 v[55:58], v66 offset:3584
	ds_load_b128 v[59:62], v66 offset:4480
	global_wb scope:SCOPE_SE
	s_wait_dscnt 0x0
	s_barrier_signal -1
	s_barrier_wait -1
	global_inv scope:SCOPE_SE
	v_fma_f64 v[130:131], v[130:131], -0.5, v[57:58]
	v_add_f64_e32 v[57:58], v[57:58], v[68:69]
	v_add_f64_e64 v[68:69], v[68:69], -v[122:123]
	v_fma_f64 v[47:48], v[47:48], -0.5, v[55:56]
	v_add_f64_e32 v[55:56], v[55:56], v[63:64]
	v_add_f64_e64 v[63:64], v[63:64], -v[120:121]
	v_add_f64_e32 v[57:58], v[57:58], v[122:123]
	s_delay_alu instid0(VALU_DEP_4) | instskip(NEXT) | instid1(VALU_DEP_4)
	v_fma_f64 v[232:233], v[68:69], s[12:13], v[47:48]
	v_add_f64_e32 v[55:56], v[55:56], v[120:121]
	v_fma_f64 v[120:121], v[68:69], s[2:3], v[47:48]
	v_fma_f64 v[122:123], v[63:64], s[12:13], v[130:131]
	;; [unrolled: 1-line block ×3, first 2 shown]
	v_add_f64_e32 v[47:48], v[124:125], v[136:137]
	v_add_f64_e32 v[63:64], v[126:127], v[128:129]
	v_add_f64_e64 v[68:69], v[126:127], -v[128:129]
	s_delay_alu instid0(VALU_DEP_3) | instskip(NEXT) | instid1(VALU_DEP_3)
	v_fma_f64 v[47:48], v[47:48], -0.5, v[59:60]
	v_fma_f64 v[63:64], v[63:64], -0.5, v[61:62]
	v_add_f64_e32 v[61:62], v[61:62], v[126:127]
	v_add_f64_e32 v[59:60], v[59:60], v[124:125]
	s_delay_alu instid0(VALU_DEP_4) | instskip(NEXT) | instid1(VALU_DEP_3)
	v_fma_f64 v[244:245], v[68:69], s[12:13], v[47:48]
	v_add_f64_e32 v[130:131], v[61:62], v[128:129]
	s_delay_alu instid0(VALU_DEP_3)
	v_add_f64_e32 v[128:129], v[59:60], v[136:137]
	v_add_f64_e64 v[59:60], v[124:125], -v[136:137]
	v_fma_f64 v[136:137], v[68:69], s[2:3], v[47:48]
	s_wait_alu 0xfffd
	v_cndmask_b32_e64 v47, 0, 0x90, vcc_lo
	v_cmp_gt_u16_e32 vcc_lo, 32, v50
	s_delay_alu instid0(VALU_DEP_2)
	v_add_lshl_u32 v2, v2, v47, 4
	ds_store_b128 v2, v[3:6]
	ds_store_b128 v2, v[11:14] offset:768
	scratch_store_b32 off, v2, off offset:536 ; 4-byte Folded Spill
	ds_store_b128 v2, v[15:18] offset:1536
	ds_store_b128 v0, v[7:10]
	ds_store_b128 v0, v[19:22] offset:768
	scratch_store_b32 off, v0, off offset:516 ; 4-byte Folded Spill
	ds_store_b128 v0, v[23:26] offset:1536
	v_and_b32_e32 v0, 0xffff, v49
	s_delay_alu instid0(VALU_DEP_1) | instskip(NEXT) | instid1(VALU_DEP_1)
	v_mul_u32_u24_e32 v0, 0x90, v0
	v_add_lshl_u32 v0, v0, v65, 4
	ds_store_b128 v0, v[27:30]
	ds_store_b128 v0, v[35:38] offset:768
	scratch_store_b32 off, v0, off offset:520 ; 4-byte Folded Spill
	ds_store_b128 v0, v[39:42] offset:1536
	v_and_b32_e32 v0, 0xffff, v70
	v_fma_f64 v[246:247], v[59:60], s[2:3], v[63:64]
	v_fma_f64 v[138:139], v[59:60], s[12:13], v[63:64]
	s_load_b64 s[2:3], s[0:1], 0x38
	s_delay_alu instid0(VALU_DEP_3) | instskip(SKIP_3) | instid1(VALU_DEP_3)
	v_mul_u32_u24_e32 v0, 0x90, v0
	v_add_co_u32 v2, s0, s8, v66
	s_wait_alu 0xf1ff
	v_add_co_ci_u32_e64 v3, null, s9, 0, s0
	v_add_lshl_u32 v0, v0, v71, 4
	ds_store_b128 v0, v[31:34]
	ds_store_b128 v0, v[43:46] offset:768
	scratch_store_b32 off, v0, off offset:524 ; 4-byte Folded Spill
	ds_store_b128 v0, v[51:54] offset:1536
	v_mad_u16 v0, 0x90, v92, v93
	s_delay_alu instid0(VALU_DEP_1) | instskip(NEXT) | instid1(VALU_DEP_1)
	v_and_b32_e32 v0, 0xffff, v0
	v_lshlrev_b32_e32 v4, 4, v0
	v_mad_u16 v0, 0x90, v94, v95
	ds_store_b128 v4, v[55:58]
	ds_store_b128 v4, v[120:123] offset:768
	v_and_b32_e32 v0, 0xffff, v0
	scratch_store_b32 off, v4, off offset:548 ; 4-byte Folded Spill
	v_lshlrev_b32_e32 v0, 4, v0
	ds_store_b128 v4, v[232:235] offset:1536
	ds_store_b128 v0, v[128:131]
	ds_store_b128 v0, v[136:139] offset:768
	scratch_store_b32 off, v0, off offset:544 ; 4-byte Folded Spill
	ds_store_b128 v0, v[244:247] offset:1536
	global_wb scope:SCOPE_SE
	s_wait_storecnt_dscnt 0x0
	s_wait_kmcnt 0x0
	s_barrier_signal -1
	s_barrier_wait -1
	global_inv scope:SCOPE_SE
	ds_load_b128 v[240:243], v66
	ds_load_b128 v[236:239], v66 offset:896
	ds_load_b128 v[196:199], v66 offset:2304
	;; [unrolled: 1-line block ×13, first 2 shown]
	s_and_saveexec_b32 s0, vcc_lo
	s_cbranch_execz .LBB0_3
; %bb.2:
	ds_load_b128 v[232:235], v66 offset:1792
	ds_load_b128 v[128:131], v66 offset:4096
	;; [unrolled: 1-line block ×7, first 2 shown]
.LBB0_3:
	s_wait_alu 0xfffe
	s_or_b32 exec_lo, exec_lo, s0
	scratch_load_b32 v8, off, off           ; 4-byte Folded Reload
	s_mov_b32 s16, 0xe976ee23
	s_mov_b32 s17, 0xbfe11646
	;; [unrolled: 1-line block ×15, first 2 shown]
	s_wait_alu 0xfffe
	s_mov_b32 s22, s12
	s_wait_loadcnt 0x0
	v_mad_co_u64_u32 v[4:5], null, 0x60, v8, s[10:11]
	s_clause 0x1
	global_load_b128 v[180:183], v[4:5], off offset:2272
	global_load_b128 v[188:191], v[4:5], off offset:2288
	s_wait_loadcnt_dscnt 0x10b
	v_mul_f64_e32 v[6:7], v[198:199], v[182:183]
	s_delay_alu instid0(VALU_DEP_1) | instskip(SKIP_1) | instid1(VALU_DEP_1)
	v_fma_f64 v[50:51], v[196:197], v[180:181], -v[6:7]
	v_mul_f64_e32 v[6:7], v[196:197], v[182:183]
	v_fma_f64 v[52:53], v[198:199], v[180:181], v[6:7]
	s_wait_loadcnt_dscnt 0x9
	v_mul_f64_e32 v[6:7], v[194:195], v[190:191]
	s_delay_alu instid0(VALU_DEP_1) | instskip(SKIP_1) | instid1(VALU_DEP_1)
	v_fma_f64 v[54:55], v[192:193], v[188:189], -v[6:7]
	v_mul_f64_e32 v[6:7], v[192:193], v[190:191]
	v_fma_f64 v[56:57], v[194:195], v[188:189], v[6:7]
	s_clause 0x1
	global_load_b128 v[192:195], v[4:5], off offset:2352
	global_load_b128 v[196:199], v[4:5], off offset:2336
	s_wait_loadcnt_dscnt 0x101
	v_mul_f64_e32 v[6:7], v[206:207], v[194:195]
	s_delay_alu instid0(VALU_DEP_1) | instskip(SKIP_1) | instid1(VALU_DEP_1)
	v_fma_f64 v[58:59], v[204:205], v[192:193], -v[6:7]
	v_mul_f64_e32 v[6:7], v[204:205], v[194:195]
	v_fma_f64 v[60:61], v[206:207], v[192:193], v[6:7]
	s_wait_loadcnt 0x0
	v_mul_f64_e32 v[6:7], v[202:203], v[198:199]
	s_delay_alu instid0(VALU_DEP_1) | instskip(SKIP_1) | instid1(VALU_DEP_1)
	v_fma_f64 v[62:63], v[200:201], v[196:197], -v[6:7]
	v_mul_f64_e32 v[6:7], v[200:201], v[198:199]
	v_fma_f64 v[64:65], v[202:203], v[196:197], v[6:7]
	s_clause 0x1
	global_load_b128 v[200:203], v[4:5], off offset:7648
	global_load_b128 v[204:207], v[4:5], off offset:7664
	v_add_f64_e32 v[70:71], v[56:57], v[64:65]
	v_add_f64_e64 v[56:57], v[56:57], -v[64:65]
	s_wait_loadcnt 0x1
	v_mul_f64_e32 v[6:7], v[214:215], v[202:203]
	s_delay_alu instid0(VALU_DEP_1) | instskip(SKIP_1) | instid1(VALU_DEP_1)
	v_fma_f64 v[20:21], v[212:213], v[200:201], -v[6:7]
	v_mul_f64_e32 v[6:7], v[212:213], v[202:203]
	v_fma_f64 v[22:23], v[214:215], v[200:201], v[6:7]
	s_wait_loadcnt 0x0
	v_mul_f64_e32 v[6:7], v[210:211], v[206:207]
	s_delay_alu instid0(VALU_DEP_1) | instskip(SKIP_1) | instid1(VALU_DEP_1)
	v_fma_f64 v[28:29], v[208:209], v[204:205], -v[6:7]
	v_mul_f64_e32 v[6:7], v[208:209], v[206:207]
	v_fma_f64 v[30:31], v[210:211], v[204:205], v[6:7]
	s_clause 0x1
	global_load_b128 v[208:211], v[4:5], off offset:7728
	global_load_b128 v[212:215], v[4:5], off offset:7712
	s_wait_loadcnt_dscnt 0x100
	v_mul_f64_e32 v[6:7], v[222:223], v[210:211]
	s_delay_alu instid0(VALU_DEP_1) | instskip(SKIP_1) | instid1(VALU_DEP_1)
	v_fma_f64 v[34:35], v[220:221], v[208:209], -v[6:7]
	v_mul_f64_e32 v[6:7], v[220:221], v[210:211]
	v_fma_f64 v[36:37], v[222:223], v[208:209], v[6:7]
	s_wait_loadcnt 0x0
	v_mul_f64_e32 v[6:7], v[218:219], v[214:215]
	s_delay_alu instid0(VALU_DEP_1) | instskip(SKIP_1) | instid1(VALU_DEP_1)
	v_fma_f64 v[38:39], v[216:217], v[212:213], -v[6:7]
	v_mul_f64_e32 v[6:7], v[216:217], v[214:215]
	v_fma_f64 v[40:41], v[218:219], v[212:213], v[6:7]
	s_clause 0x1
	global_load_b128 v[216:219], v[4:5], off offset:2304
	global_load_b128 v[220:223], v[4:5], off offset:2320
	s_wait_loadcnt 0x1
	v_mul_f64_e32 v[6:7], v[230:231], v[218:219]
	s_delay_alu instid0(VALU_DEP_1) | instskip(SKIP_1) | instid1(VALU_DEP_1)
	v_fma_f64 v[68:69], v[228:229], v[216:217], -v[6:7]
	v_mul_f64_e32 v[6:7], v[228:229], v[218:219]
	v_fma_f64 v[252:253], v[230:231], v[216:217], v[6:7]
	s_wait_loadcnt 0x0
	v_mul_f64_e32 v[6:7], v[226:227], v[222:223]
	s_delay_alu instid0(VALU_DEP_1) | instskip(SKIP_1) | instid1(VALU_DEP_1)
	v_fma_f64 v[254:255], v[224:225], v[220:221], -v[6:7]
	v_mul_f64_e32 v[6:7], v[224:225], v[222:223]
	v_fma_f64 v[0:1], v[226:227], v[220:221], v[6:7]
	s_clause 0x1
	global_load_b128 v[224:227], v[4:5], off offset:7680
	global_load_b128 v[228:231], v[4:5], off offset:7696
	s_wait_loadcnt 0x1
	v_mul_f64_e32 v[4:5], v[126:127], v[226:227]
	s_delay_alu instid0(VALU_DEP_1) | instskip(SKIP_3) | instid1(VALU_DEP_3)
	v_fma_f64 v[44:45], v[124:125], v[224:225], -v[4:5]
	v_mul_f64_e32 v[4:5], v[124:125], v[226:227]
	v_add_f64_e32 v[124:125], v[252:253], v[0:1]
	v_add_f64_e64 v[0:1], v[0:1], -v[252:253]
	v_fma_f64 v[42:43], v[126:127], v[224:225], v[4:5]
	s_wait_loadcnt 0x0
	v_mul_f64_e32 v[4:5], v[122:123], v[230:231]
	s_delay_alu instid0(VALU_DEP_1) | instskip(SKIP_1) | instid1(VALU_DEP_1)
	v_fma_f64 v[48:49], v[120:121], v[228:229], -v[4:5]
	v_mul_f64_e32 v[4:5], v[120:121], v[230:231]
	v_fma_f64 v[46:47], v[122:123], v[228:229], v[4:5]
	v_subrev_nc_u32_e32 v4, 32, v8
	v_add_f64_e32 v[122:123], v[54:55], v[62:63]
	v_add_f64_e64 v[54:55], v[54:55], -v[62:63]
	v_add_f64_e64 v[62:63], v[254:255], -v[68:69]
	s_delay_alu instid0(VALU_DEP_4) | instskip(NEXT) | instid1(VALU_DEP_1)
	v_cndmask_b32_e32 v4, v4, v67, vcc_lo
	v_mul_i32_i24_e32 v5, 0x60, v4
	v_mul_hi_i32_i24_e32 v4, 0x60, v4
	s_delay_alu instid0(VALU_DEP_2) | instskip(SKIP_1) | instid1(VALU_DEP_2)
	v_add_co_u32 v24, s0, s10, v5
	s_wait_alu 0xf1ff
	v_add_co_ci_u32_e64 v25, s0, s11, v4, s0
	s_clause 0x1
	global_load_b128 v[8:11], v[24:25], off offset:2272
	global_load_b128 v[12:15], v[24:25], off offset:2288
	s_mov_b32 s10, 0x36b3c0b5
	s_mov_b32 s11, 0x3fac98ee
	;; [unrolled: 1-line block ×4, first 2 shown]
	s_wait_loadcnt 0x1
	scratch_store_b128 off, v[8:11], off offset:564 ; 16-byte Folded Spill
	s_wait_loadcnt 0x0
	scratch_store_b128 off, v[12:15], off offset:580 ; 16-byte Folded Spill
	s_clause 0x1
	global_load_b128 v[16:19], v[24:25], off offset:2352
	global_load_b128 v[92:95], v[24:25], off offset:2336
	v_mul_f64_e32 v[4:5], v[130:131], v[10:11]
	v_mul_f64_e32 v[6:7], v[128:129], v[10:11]
	s_delay_alu instid0(VALU_DEP_2) | instskip(NEXT) | instid1(VALU_DEP_2)
	v_fma_f64 v[4:5], v[128:129], v[8:9], -v[4:5]
	v_fma_f64 v[6:7], v[130:131], v[8:9], v[6:7]
	v_mul_f64_e32 v[8:9], v[138:139], v[14:15]
	v_add_f64_e32 v[128:129], v[20:21], v[34:35]
	v_add_f64_e32 v[130:131], v[28:29], v[38:39]
	v_add_f64_e64 v[34:35], v[20:21], -v[34:35]
	s_delay_alu instid0(VALU_DEP_4) | instskip(SKIP_2) | instid1(VALU_DEP_2)
	v_fma_f64 v[10:11], v[136:137], v[12:13], -v[8:9]
	v_mul_f64_e32 v[8:9], v[136:137], v[14:15]
	v_add_f64_e32 v[136:137], v[44:45], v[48:49]
	v_fma_f64 v[8:9], v[138:139], v[12:13], v[8:9]
	v_add_f64_e32 v[138:139], v[130:131], v[128:129]
	s_delay_alu instid0(VALU_DEP_1) | instskip(NEXT) | instid1(VALU_DEP_1)
	v_add_f64_e32 v[138:139], v[136:137], v[138:139]
	v_add_f64_e32 v[236:237], v[236:237], v[138:139]
	s_wait_loadcnt 0x1
	v_mul_f64_e32 v[12:13], v[146:147], v[18:19]
	v_mul_f64_e32 v[14:15], v[144:145], v[18:19]
	scratch_store_b128 off, v[16:19], off offset:596 ; 16-byte Folded Spill
	s_wait_loadcnt 0x0
	scratch_store_b128 off, v[92:95], off offset:612 ; 16-byte Folded Spill
	v_fma_f64 v[12:13], v[144:145], v[16:17], -v[12:13]
	v_fma_f64 v[14:15], v[146:147], v[16:17], v[14:15]
	v_mul_f64_e32 v[16:17], v[142:143], v[94:95]
	v_add_f64_e32 v[144:145], v[42:43], v[46:47]
	s_delay_alu instid0(VALU_DEP_2) | instskip(SKIP_3) | instid1(VALU_DEP_3)
	v_fma_f64 v[18:19], v[140:141], v[92:93], -v[16:17]
	v_mul_f64_e32 v[16:17], v[140:141], v[94:95]
	v_add_f64_e32 v[140:141], v[22:23], v[36:37]
	v_add_f64_e64 v[36:37], v[22:23], -v[36:37]
	v_fma_f64 v[16:17], v[142:143], v[92:93], v[16:17]
	s_clause 0x1
	global_load_b128 v[92:95], v[24:25], off offset:2304
	global_load_b128 v[96:99], v[24:25], off offset:2320
	v_add_f64_e32 v[142:143], v[30:31], v[40:41]
	s_delay_alu instid0(VALU_DEP_1) | instskip(NEXT) | instid1(VALU_DEP_1)
	v_add_f64_e32 v[146:147], v[142:143], v[140:141]
	v_add_f64_e32 v[146:147], v[144:145], v[146:147]
	s_delay_alu instid0(VALU_DEP_1)
	v_add_f64_e32 v[238:239], v[238:239], v[146:147]
	s_wait_loadcnt 0x1
	v_mul_f64_e32 v[24:25], v[246:247], v[94:95]
	s_wait_loadcnt 0x0
	v_mul_f64_e32 v[32:33], v[250:251], v[98:99]
	v_mul_f64_e32 v[120:121], v[248:249], v[98:99]
	s_clause 0x1
	scratch_store_b128 off, v[92:95], off offset:628
	scratch_store_b128 off, v[96:99], off offset:644
	v_fma_f64 v[26:27], v[244:245], v[92:93], -v[24:25]
	v_mul_f64_e32 v[24:25], v[244:245], v[94:95]
	v_fma_f64 v[32:33], v[248:249], v[96:97], -v[32:33]
	v_fma_f64 v[248:249], v[250:251], v[96:97], v[120:121]
	v_add_f64_e32 v[120:121], v[50:51], v[58:59]
	v_add_f64_e32 v[244:245], v[68:69], v[254:255]
	v_add_f64_e32 v[250:251], v[52:53], v[60:61]
	v_add_f64_e64 v[58:59], v[50:51], -v[58:59]
	v_add_f64_e64 v[60:61], v[52:53], -v[60:61]
	;; [unrolled: 1-line block ×3, first 2 shown]
	v_add_f64_e32 v[50:51], v[62:63], v[54:55]
	v_add_f64_e32 v[254:255], v[0:1], v[56:57]
	v_fma_f64 v[24:25], v[246:247], v[92:93], v[24:25]
	v_add_f64_e32 v[246:247], v[122:123], v[120:121]
	v_add_f64_e64 v[67:68], v[244:245], -v[122:123]
	v_add_f64_e64 v[64:65], v[122:123], -v[120:121]
	;; [unrolled: 1-line block ×4, first 2 shown]
	v_mul_f64_e32 v[94:95], s[16:17], v[52:53]
	v_add_f64_e64 v[92:93], v[56:57], -v[60:61]
	v_add_f64_e32 v[98:99], v[50:51], v[58:59]
	v_add_f64_e32 v[126:127], v[70:71], v[250:251]
	;; [unrolled: 1-line block ×3, first 2 shown]
	v_add_f64_e64 v[122:123], v[70:71], -v[250:251]
	v_add_f64_e64 v[69:70], v[124:125], -v[70:71]
	;; [unrolled: 1-line block ×3, first 2 shown]
	v_add_f64_e32 v[246:247], v[244:245], v[246:247]
	s_wait_alu 0xfffe
	v_mul_f64_e32 v[50:51], s[10:11], v[67:68]
	v_mul_f64_e32 v[96:97], s[16:17], v[54:55]
	v_fma_f64 v[54:55], v[252:253], s[14:15], -v[94:95]
	v_mul_f64_e32 v[60:61], s[14:15], v[92:93]
	v_add_f64_e32 v[126:127], v[124:125], v[126:127]
	v_mul_f64_e32 v[52:53], s[10:11], v[69:70]
	v_add_f64_e32 v[240:241], v[240:241], v[246:247]
	v_fma_f64 v[50:51], v[64:65], s[12:13], -v[50:51]
	v_fma_f64 v[56:57], v[98:99], s[18:19], v[54:55]
	v_fma_f64 v[54:55], v[92:93], s[14:15], -v[96:97]
	v_fma_f64 v[60:61], v[0:1], s[26:27], -v[60:61]
	v_add_f64_e32 v[242:243], v[242:243], v[126:127]
	v_fma_f64 v[0:1], v[0:1], s[24:25], v[96:97]
	v_fma_f64 v[52:53], v[122:123], s[12:13], -v[52:53]
	s_wait_alu 0xf1ff
	v_fma_f64 v[246:247], v[246:247], s[0:1], v[240:241]
	v_fma_f64 v[54:55], v[254:255], s[18:19], v[54:55]
	;; [unrolled: 1-line block ×4, first 2 shown]
	s_delay_alu instid0(VALU_DEP_4) | instskip(NEXT) | instid1(VALU_DEP_3)
	v_add_f64_e32 v[100:101], v[50:51], v[246:247]
	v_add_f64_e32 v[102:103], v[52:53], v[126:127]
	s_delay_alu instid0(VALU_DEP_2)
	v_add_f64_e64 v[50:51], v[100:101], -v[54:55]
	v_add_f64_e32 v[54:55], v[54:55], v[100:101]
	v_add_f64_e64 v[100:101], v[120:121], -v[244:245]
	v_add_f64_e64 v[120:121], v[58:59], -v[62:63]
	v_mul_f64_e32 v[58:59], s[14:15], v[252:253]
	v_add_f64_e32 v[52:53], v[56:57], v[102:103]
	v_add_f64_e64 v[56:57], v[102:103], -v[56:57]
	v_add_f64_e64 v[102:103], v[250:251], -v[124:125]
	v_mul_f64_e32 v[92:93], s[20:21], v[100:101]
	v_fma_f64 v[94:95], v[120:121], s[24:25], v[94:95]
	v_fma_f64 v[58:59], v[120:121], s[26:27], -v[58:59]
	v_fma_f64 v[120:121], v[146:147], s[0:1], v[238:239]
	v_mul_f64_e32 v[100:101], s[20:21], v[102:103]
	v_fma_f64 v[67:68], v[67:68], s[10:11], v[92:93]
	v_fma_f64 v[62:63], v[64:65], s[22:23], -v[92:93]
	v_fma_f64 v[92:93], v[98:99], s[18:19], v[94:95]
	v_fma_f64 v[102:103], v[98:99], s[18:19], v[58:59]
	;; [unrolled: 1-line block ×3, first 2 shown]
	v_fma_f64 v[64:65], v[122:123], s[22:23], -v[100:101]
	v_fma_f64 v[122:123], v[254:255], s[18:19], v[60:61]
	v_add_f64_e32 v[94:95], v[67:68], v[246:247]
	v_add_f64_e32 v[62:63], v[62:63], v[246:247]
	;; [unrolled: 1-line block ×4, first 2 shown]
	s_delay_alu instid0(VALU_DEP_4)
	v_add_f64_e32 v[67:68], v[0:1], v[94:95]
	v_add_f64_e64 v[250:251], v[94:95], -v[0:1]
	v_add_f64_e64 v[0:1], v[28:29], -v[38:39]
	;; [unrolled: 1-line block ×8, first 2 shown]
	v_add_f64_e32 v[252:253], v[92:93], v[96:97]
	v_add_f64_e64 v[48:49], v[144:145], -v[142:143]
	v_add_f64_e64 v[60:61], v[64:65], -v[102:103]
	v_add_f64_e32 v[64:65], v[102:103], v[64:65]
	v_add_f64_e64 v[46:47], v[142:143], -v[140:141]
	v_fma_f64 v[102:103], v[138:139], s[0:1], v[236:237]
	v_add_f64_e32 v[58:59], v[122:123], v[62:63]
	v_add_f64_e64 v[62:63], v[62:63], -v[122:123]
	v_add_f64_e64 v[22:23], v[38:39], -v[0:1]
	v_add_f64_e32 v[20:21], v[38:39], v[0:1]
	v_add_f64_e64 v[0:1], v[0:1], -v[34:35]
	v_add_f64_e64 v[30:31], v[40:41], -v[28:29]
	;; [unrolled: 3-line block ×3, first 2 shown]
	v_mul_f64_e32 v[98:99], s[16:17], v[22:23]
	v_add_f64_e32 v[96:97], v[20:21], v[34:35]
	v_mul_f64_e32 v[20:21], s[10:11], v[44:45]
	v_mul_f64_e32 v[100:101], s[16:17], v[30:31]
	v_add_f64_e32 v[92:93], v[92:93], v[36:37]
	v_mul_f64_e32 v[22:23], s[10:11], v[48:49]
	v_mul_f64_e32 v[34:35], s[14:15], v[94:95]
	v_fma_f64 v[28:29], v[0:1], s[14:15], -v[98:99]
	v_mul_f64_e32 v[0:1], s[14:15], v[0:1]
	v_fma_f64 v[20:21], v[42:43], s[12:13], -v[20:21]
	v_fma_f64 v[22:23], v[46:47], s[12:13], -v[22:23]
	s_delay_alu instid0(VALU_DEP_4) | instskip(SKIP_1) | instid1(VALU_DEP_4)
	v_fma_f64 v[30:31], v[96:97], s[18:19], v[28:29]
	v_fma_f64 v[28:29], v[94:95], s[14:15], -v[100:101]
	v_add_f64_e32 v[122:123], v[20:21], v[102:103]
	v_fma_f64 v[0:1], v[126:127], s[26:27], -v[0:1]
	v_add_f64_e32 v[124:125], v[22:23], v[120:121]
	s_delay_alu instid0(VALU_DEP_4) | instskip(NEXT) | instid1(VALU_DEP_3)
	v_fma_f64 v[28:29], v[92:93], s[18:19], v[28:29]
	v_fma_f64 v[0:1], v[96:97], s[18:19], v[0:1]
	s_delay_alu instid0(VALU_DEP_3)
	v_add_f64_e32 v[22:23], v[30:31], v[124:125]
	v_add_f64_e64 v[30:31], v[124:125], -v[30:31]
	v_add_f64_e64 v[124:125], v[140:141], -v[144:145]
	;; [unrolled: 1-line block ×3, first 2 shown]
	v_add_f64_e32 v[28:29], v[28:29], v[122:123]
	v_add_f64_e64 v[122:123], v[128:129], -v[136:137]
	v_add_f64_e64 v[128:129], v[36:37], -v[40:41]
	s_delay_alu instid0(VALU_DEP_2) | instskip(SKIP_1) | instid1(VALU_DEP_3)
	v_mul_f64_e32 v[94:95], s[20:21], v[122:123]
	v_mul_f64_e32 v[122:123], s[20:21], v[124:125]
	v_fma_f64 v[34:35], v[128:129], s[26:27], -v[34:35]
	s_delay_alu instid0(VALU_DEP_3) | instskip(NEXT) | instid1(VALU_DEP_3)
	v_fma_f64 v[36:37], v[42:43], s[22:23], -v[94:95]
	v_fma_f64 v[38:39], v[46:47], s[22:23], -v[122:123]
	s_delay_alu instid0(VALU_DEP_3) | instskip(SKIP_1) | instid1(VALU_DEP_4)
	v_fma_f64 v[40:41], v[92:93], s[18:19], v[34:35]
	v_fma_f64 v[44:45], v[44:45], s[10:11], v[94:95]
	v_add_f64_e32 v[42:43], v[36:37], v[102:103]
	s_delay_alu instid0(VALU_DEP_4) | instskip(NEXT) | instid1(VALU_DEP_2)
	v_add_f64_e32 v[46:47], v[38:39], v[120:121]
	v_add_f64_e32 v[34:35], v[40:41], v[42:43]
	v_add_f64_e64 v[38:39], v[42:43], -v[40:41]
	v_fma_f64 v[42:43], v[128:129], s[24:25], v[100:101]
	s_delay_alu instid0(VALU_DEP_4)
	v_add_f64_e64 v[36:37], v[46:47], -v[0:1]
	v_add_f64_e32 v[40:41], v[0:1], v[46:47]
	v_fma_f64 v[0:1], v[126:127], s[24:25], v[98:99]
	v_fma_f64 v[46:47], v[48:49], s[10:11], v[122:123]
	v_add_f64_e32 v[100:101], v[8:9], v[16:17]
	v_add_f64_e64 v[8:9], v[8:9], -v[16:17]
	v_add_f64_e32 v[98:99], v[6:7], v[14:15]
	v_add_f64_e64 v[6:7], v[6:7], -v[14:15]
	v_fma_f64 v[48:49], v[92:93], s[18:19], v[42:43]
	v_add_f64_e32 v[92:93], v[44:45], v[102:103]
	v_add_f64_e32 v[102:103], v[24:25], v[248:249]
	v_fma_f64 v[0:1], v[96:97], s[18:19], v[0:1]
	v_add_f64_e32 v[94:95], v[46:47], v[120:121]
	v_add_f64_e32 v[120:121], v[100:101], v[98:99]
	;; [unrolled: 1-line block ×3, first 2 shown]
	v_add_f64_e64 v[46:47], v[92:93], -v[48:49]
	v_add_f64_e32 v[92:93], v[10:11], v[18:19]
	v_add_f64_e64 v[10:11], v[10:11], -v[18:19]
	v_add_f64_e64 v[18:19], v[32:33], -v[26:27]
	;; [unrolled: 1-line block ×3, first 2 shown]
	v_add_f64_e32 v[48:49], v[0:1], v[94:95]
	v_add_f64_e32 v[0:1], v[4:5], v[12:13]
	v_add_f64_e32 v[94:95], v[26:27], v[32:33]
	v_add_f64_e64 v[4:5], v[4:5], -v[12:13]
	v_add_f64_e64 v[12:13], v[248:249], -v[24:25]
	ds_store_b128 v66, v[240:243]
	ds_store_b128 v66, v[236:239] offset:896
	ds_store_b128 v66, v[67:70] offset:2304
	;; [unrolled: 1-line block ×13, first 2 shown]
	v_add_f64_e64 v[24:25], v[98:99], -v[102:103]
	v_add_f64_e32 v[26:27], v[18:19], v[10:11]
	v_add_f64_e64 v[28:29], v[18:19], -v[10:11]
	v_add_f64_e32 v[120:121], v[102:103], v[120:121]
	v_add_f64_e32 v[96:97], v[92:93], v[0:1]
	v_add_f64_e64 v[14:15], v[92:93], -v[0:1]
	v_add_f64_e64 v[10:11], v[10:11], -v[4:5]
	;; [unrolled: 1-line block ×8, first 2 shown]
	v_add_f64_e32 v[4:5], v[26:27], v[4:5]
	v_add_f64_e32 v[26:27], v[12:13], v[8:9]
	v_add_f64_e64 v[8:9], v[8:9], -v[6:7]
	v_add_f64_e64 v[12:13], v[6:7], -v[12:13]
	v_add_f64_e32 v[96:97], v[94:95], v[96:97]
	v_add_f64_e32 v[246:247], v[234:235], v[120:121]
	v_mul_f64_e32 v[0:1], s[20:21], v[0:1]
	v_add_f64_e32 v[26:27], v[26:27], v[6:7]
	v_mul_f64_e32 v[6:7], s[16:17], v[28:29]
	v_mul_f64_e32 v[28:29], s[14:15], v[10:11]
	v_add_f64_e32 v[244:245], v[232:233], v[96:97]
	s_delay_alu instid0(VALU_DEP_3) | instskip(SKIP_1) | instid1(VALU_DEP_4)
	v_fma_f64 v[10:11], v[10:11], s[14:15], -v[6:7]
	v_fma_f64 v[6:7], v[18:19], s[24:25], v[6:7]
	v_fma_f64 v[18:19], v[18:19], s[26:27], -v[28:29]
	v_mul_f64_e32 v[28:29], s[16:17], v[30:31]
	v_mul_f64_e32 v[30:31], s[14:15], v[8:9]
	s_delay_alu instid0(VALU_DEP_4) | instskip(NEXT) | instid1(VALU_DEP_4)
	v_fma_f64 v[6:7], v[4:5], s[18:19], v[6:7]
	v_fma_f64 v[18:19], v[4:5], s[18:19], v[18:19]
	s_delay_alu instid0(VALU_DEP_4)
	v_fma_f64 v[32:33], v[8:9], s[14:15], -v[28:29]
	v_fma_f64 v[8:9], v[12:13], s[24:25], v[28:29]
	v_mul_f64_e32 v[28:29], s[10:11], v[16:17]
	v_fma_f64 v[12:13], v[12:13], s[26:27], -v[30:31]
	v_fma_f64 v[16:17], v[16:17], s[10:11], v[0:1]
	v_fma_f64 v[0:1], v[14:15], s[22:23], -v[0:1]
	v_fma_f64 v[8:9], v[26:27], s[18:19], v[8:9]
	v_fma_f64 v[28:29], v[14:15], s[12:13], -v[28:29]
	v_mul_f64_e32 v[14:15], s[20:21], v[24:25]
	v_mul_f64_e32 v[24:25], s[10:11], v[22:23]
	s_delay_alu instid0(VALU_DEP_2)
	v_fma_f64 v[30:31], v[22:23], s[10:11], v[14:15]
	v_fma_f64 v[22:23], v[4:5], s[18:19], v[10:11]
	;; [unrolled: 1-line block ×5, first 2 shown]
	v_fma_f64 v[24:25], v[20:21], s[12:13], -v[24:25]
	v_fma_f64 v[20:21], v[20:21], s[22:23], -v[14:15]
	s_delay_alu instid0(VALU_DEP_3) | instskip(SKIP_3) | instid1(VALU_DEP_4)
	v_add_f64_e32 v[14:15], v[0:1], v[26:27]
	v_fma_f64 v[0:1], v[120:121], s[0:1], v[246:247]
	v_add_f64_e32 v[12:13], v[28:29], v[26:27]
	v_add_f64_e32 v[16:17], v[16:17], v[26:27]
	v_add_f64_e64 v[128:129], v[14:15], -v[10:11]
	s_delay_alu instid0(VALU_DEP_4)
	v_add_f64_e32 v[26:27], v[24:25], v[0:1]
	v_add_f64_e32 v[24:25], v[20:21], v[0:1]
	;; [unrolled: 1-line block ×4, first 2 shown]
	v_add_f64_e64 v[136:137], v[16:17], -v[8:9]
	v_add_f64_e64 v[126:127], v[26:27], -v[22:23]
	v_add_f64_e32 v[130:131], v[18:19], v[24:25]
	v_add_f64_e32 v[138:139], v[6:7], v[20:21]
	s_and_saveexec_b32 s0, vcc_lo
	s_cbranch_execz .LBB0_5
; %bb.4:
	v_add_f64_e32 v[22:23], v[22:23], v[26:27]
	v_add_f64_e64 v[18:19], v[24:25], -v[18:19]
	v_add_f64_e64 v[26:27], v[20:21], -v[6:7]
	v_add_f64_e32 v[24:25], v[8:9], v[16:17]
	v_add_f64_e32 v[16:17], v[10:11], v[14:15]
	v_add_f64_e64 v[20:21], v[12:13], -v[4:5]
	ds_store_b128 v66, v[124:127] offset:11008
	ds_store_b128 v66, v[128:131] offset:13312
	;; [unrolled: 1-line block ×7, first 2 shown]
.LBB0_5:
	s_wait_alu 0xfffe
	s_or_b32 exec_lo, exec_lo, s0
	global_wb scope:SCOPE_SE
	s_wait_storecnt_dscnt 0x0
	s_barrier_signal -1
	s_barrier_wait -1
	global_inv scope:SCOPE_SE
	global_load_b128 v[244:247], v[2:3], off offset:16128
	ds_load_b128 v[2:5], v66
	ds_load_b128 v[6:9], v66 offset:896
	s_add_nc_u64 s[0:1], s[8:9], 0x3f00
	s_mov_b32 s9, 0x3febb67a
	s_wait_loadcnt_dscnt 0x1
	v_mul_f64_e32 v[0:1], v[4:5], v[246:247]
	v_mul_f64_e32 v[10:11], v[2:3], v[246:247]
	s_delay_alu instid0(VALU_DEP_2)
	v_fma_f64 v[2:3], v[2:3], v[244:245], -v[0:1]
	scratch_load_b32 v0, off, off           ; 4-byte Folded Reload
	v_fma_f64 v[4:5], v[4:5], v[244:245], v[10:11]
	s_wait_loadcnt 0x0
	v_lshlrev_b32_e32 v71, 4, v0
	global_load_b128 v[10:13], v71, s[0:1] offset:8064
	ds_load_b128 v[14:17], v66 offset:8064
	ds_load_b128 v[18:21], v66 offset:7168
	global_load_b128 v[22:25], v71, s[0:1] offset:8960
	s_wait_loadcnt_dscnt 0x101
	v_mul_f64_e32 v[0:1], v[16:17], v[12:13]
	v_mul_f64_e32 v[26:27], v[14:15], v[12:13]
	s_delay_alu instid0(VALU_DEP_2) | instskip(NEXT) | instid1(VALU_DEP_2)
	v_fma_f64 v[12:13], v[14:15], v[10:11], -v[0:1]
	v_fma_f64 v[14:15], v[16:17], v[10:11], v[26:27]
	s_clause 0x1
	global_load_b128 v[26:29], v71, s[0:1] offset:896
	global_load_b128 v[30:33], v71, s[0:1] offset:1792
	s_wait_loadcnt 0x1
	v_mul_f64_e32 v[0:1], v[8:9], v[28:29]
	v_mul_f64_e32 v[10:11], v[6:7], v[28:29]
	s_delay_alu instid0(VALU_DEP_2) | instskip(NEXT) | instid1(VALU_DEP_2)
	v_fma_f64 v[6:7], v[6:7], v[26:27], -v[0:1]
	v_fma_f64 v[8:9], v[8:9], v[26:27], v[10:11]
	ds_load_b128 v[26:29], v66 offset:8960
	ds_load_b128 v[34:37], v66 offset:9856
	;; [unrolled: 1-line block ×4, first 2 shown]
	s_wait_dscnt 0x3
	v_mul_f64_e32 v[0:1], v[28:29], v[24:25]
	v_mul_f64_e32 v[10:11], v[26:27], v[24:25]
	s_delay_alu instid0(VALU_DEP_2) | instskip(NEXT) | instid1(VALU_DEP_2)
	v_fma_f64 v[24:25], v[26:27], v[22:23], -v[0:1]
	v_fma_f64 v[26:27], v[28:29], v[22:23], v[10:11]
	s_wait_loadcnt_dscnt 0x1
	v_mul_f64_e32 v[0:1], v[40:41], v[32:33]
	v_mul_f64_e32 v[10:11], v[38:39], v[32:33]
	s_delay_alu instid0(VALU_DEP_2) | instskip(NEXT) | instid1(VALU_DEP_2)
	v_fma_f64 v[28:29], v[38:39], v[30:31], -v[0:1]
	v_fma_f64 v[30:31], v[40:41], v[30:31], v[10:11]
	s_clause 0x1
	global_load_b128 v[38:41], v71, s[0:1] offset:9856
	global_load_b128 v[46:49], v71, s[0:1] offset:10752
	s_wait_loadcnt 0x1
	v_mul_f64_e32 v[0:1], v[36:37], v[40:41]
	v_mul_f64_e32 v[10:11], v[34:35], v[40:41]
	s_delay_alu instid0(VALU_DEP_2) | instskip(NEXT) | instid1(VALU_DEP_2)
	v_fma_f64 v[32:33], v[34:35], v[38:39], -v[0:1]
	v_fma_f64 v[34:35], v[36:37], v[38:39], v[10:11]
	s_clause 0x1
	global_load_b128 v[36:39], v71, s[0:1] offset:2688
	global_load_b128 v[50:53], v71, s[0:1] offset:3584
	s_wait_loadcnt_dscnt 0x100
	v_mul_f64_e32 v[0:1], v[44:45], v[38:39]
	v_mul_f64_e32 v[10:11], v[42:43], v[38:39]
	s_delay_alu instid0(VALU_DEP_2) | instskip(NEXT) | instid1(VALU_DEP_2)
	v_fma_f64 v[38:39], v[42:43], v[36:37], -v[0:1]
	v_fma_f64 v[40:41], v[44:45], v[36:37], v[10:11]
	ds_load_b128 v[42:45], v66 offset:10752
	ds_load_b128 v[54:57], v66 offset:11648
	s_wait_dscnt 0x1
	v_mul_f64_e32 v[0:1], v[44:45], v[48:49]
	v_mul_f64_e32 v[10:11], v[42:43], v[48:49]
	s_delay_alu instid0(VALU_DEP_2) | instskip(NEXT) | instid1(VALU_DEP_2)
	v_fma_f64 v[42:43], v[42:43], v[46:47], -v[0:1]
	v_fma_f64 v[44:45], v[44:45], v[46:47], v[10:11]
	ds_load_b128 v[46:49], v66 offset:3584
	ds_load_b128 v[58:61], v66 offset:4480
	s_wait_loadcnt_dscnt 0x1
	v_mul_f64_e32 v[0:1], v[48:49], v[52:53]
	v_mul_f64_e32 v[10:11], v[46:47], v[52:53]
	s_delay_alu instid0(VALU_DEP_2) | instskip(NEXT) | instid1(VALU_DEP_2)
	v_fma_f64 v[46:47], v[46:47], v[50:51], -v[0:1]
	v_fma_f64 v[48:49], v[48:49], v[50:51], v[10:11]
	s_clause 0x3
	global_load_b128 v[50:53], v71, s[0:1] offset:11648
	global_load_b128 v[62:65], v71, s[0:1] offset:12544
	;; [unrolled: 1-line block ×4, first 2 shown]
	s_wait_loadcnt 0x3
	v_mul_f64_e32 v[0:1], v[56:57], v[52:53]
	v_mul_f64_e32 v[10:11], v[54:55], v[52:53]
	s_delay_alu instid0(VALU_DEP_2) | instskip(NEXT) | instid1(VALU_DEP_2)
	v_fma_f64 v[52:53], v[54:55], v[50:51], -v[0:1]
	v_fma_f64 v[54:55], v[56:57], v[50:51], v[10:11]
	s_wait_loadcnt_dscnt 0x100
	v_mul_f64_e32 v[0:1], v[60:61], v[69:70]
	v_mul_f64_e32 v[10:11], v[58:59], v[69:70]
	s_delay_alu instid0(VALU_DEP_2) | instskip(NEXT) | instid1(VALU_DEP_2)
	v_fma_f64 v[56:57], v[58:59], v[67:68], -v[0:1]
	v_fma_f64 v[58:59], v[60:61], v[67:68], v[10:11]
	ds_load_b128 v[67:70], v66 offset:12544
	ds_load_b128 v[248:251], v66 offset:13440
	s_wait_dscnt 0x1
	v_mul_f64_e32 v[0:1], v[69:70], v[64:65]
	v_mul_f64_e32 v[10:11], v[67:68], v[64:65]
	s_delay_alu instid0(VALU_DEP_2) | instskip(NEXT) | instid1(VALU_DEP_2)
	v_fma_f64 v[60:61], v[67:68], v[62:63], -v[0:1]
	v_fma_f64 v[62:63], v[69:70], v[62:63], v[10:11]
	ds_load_b128 v[67:70], v66 offset:5376
	ds_load_b128 v[252:255], v66 offset:6272
	s_wait_loadcnt_dscnt 0x1
	v_mul_f64_e32 v[0:1], v[69:70], v[246:247]
	v_mul_f64_e32 v[10:11], v[67:68], v[246:247]
	s_delay_alu instid0(VALU_DEP_2) | instskip(NEXT) | instid1(VALU_DEP_2)
	v_fma_f64 v[67:68], v[67:68], v[244:245], -v[0:1]
	v_fma_f64 v[69:70], v[69:70], v[244:245], v[10:11]
	s_clause 0x3
	global_load_b128 v[244:247], v71, s[0:1] offset:13440
	global_load_b128 v[232:235], v71, s[0:1] offset:14336
	;; [unrolled: 1-line block ×4, first 2 shown]
	s_wait_loadcnt 0x3
	v_mul_f64_e32 v[0:1], v[250:251], v[246:247]
	v_mul_f64_e32 v[10:11], v[248:249], v[246:247]
	s_delay_alu instid0(VALU_DEP_2) | instskip(NEXT) | instid1(VALU_DEP_2)
	v_fma_f64 v[246:247], v[248:249], v[244:245], -v[0:1]
	v_fma_f64 v[248:249], v[250:251], v[244:245], v[10:11]
	s_wait_loadcnt_dscnt 0x100
	v_mul_f64_e32 v[0:1], v[254:255], v[238:239]
	v_mul_f64_e32 v[10:11], v[252:253], v[238:239]
	s_delay_alu instid0(VALU_DEP_2) | instskip(NEXT) | instid1(VALU_DEP_2)
	v_fma_f64 v[250:251], v[252:253], v[236:237], -v[0:1]
	v_fma_f64 v[252:253], v[254:255], v[236:237], v[10:11]
	ds_load_b128 v[236:239], v66 offset:14336
	ds_load_b128 v[120:123], v66 offset:15232
	s_wait_dscnt 0x1
	v_mul_f64_e32 v[0:1], v[238:239], v[234:235]
	v_mul_f64_e32 v[10:11], v[236:237], v[234:235]
	s_delay_alu instid0(VALU_DEP_2) | instskip(NEXT) | instid1(VALU_DEP_2)
	v_fma_f64 v[234:235], v[236:237], v[232:233], -v[0:1]
	v_fma_f64 v[236:237], v[238:239], v[232:233], v[10:11]
	s_wait_loadcnt 0x0
	v_mul_f64_e32 v[0:1], v[20:21], v[242:243]
	v_mul_f64_e32 v[10:11], v[18:19], v[242:243]
	s_delay_alu instid0(VALU_DEP_2) | instskip(NEXT) | instid1(VALU_DEP_2)
	v_fma_f64 v[16:17], v[18:19], v[240:241], -v[0:1]
	v_fma_f64 v[18:19], v[20:21], v[240:241], v[10:11]
	global_load_b128 v[20:23], v71, s[0:1] offset:15232
	s_mov_b32 s0, 0xe8584caa
	s_mov_b32 s1, 0xbfebb67a
	s_wait_alu 0xfffe
	s_mov_b32 s8, s0
	s_wait_loadcnt_dscnt 0x0
	v_mul_f64_e32 v[0:1], v[122:123], v[22:23]
	v_mul_f64_e32 v[10:11], v[120:121], v[22:23]
	s_delay_alu instid0(VALU_DEP_2) | instskip(NEXT) | instid1(VALU_DEP_2)
	v_fma_f64 v[120:121], v[120:121], v[20:21], -v[0:1]
	v_fma_f64 v[122:123], v[122:123], v[20:21], v[10:11]
	ds_store_b128 v66, v[2:5]
	ds_store_b128 v66, v[6:9] offset:896
	ds_store_b128 v66, v[24:27] offset:8960
	;; [unrolled: 1-line block ×17, first 2 shown]
	global_wb scope:SCOPE_SE
	s_wait_dscnt 0x0
	s_barrier_signal -1
	s_barrier_wait -1
	global_inv scope:SCOPE_SE
	ds_load_b128 v[2:5], v66 offset:8064
	ds_load_b128 v[6:9], v66
	ds_load_b128 v[10:13], v66 offset:896
	ds_load_b128 v[14:17], v66 offset:7168
	;; [unrolled: 1-line block ×16, first 2 shown]
	global_wb scope:SCOPE_SE
	s_wait_dscnt 0x0
	s_barrier_signal -1
	s_barrier_wait -1
	global_inv scope:SCOPE_SE
	scratch_load_b32 v0, off, off offset:340 th:TH_LOAD_LU ; 4-byte Folded Reload
	v_add_f64_e64 v[2:3], v[6:7], -v[2:3]
	v_add_f64_e64 v[4:5], v[8:9], -v[4:5]
	s_delay_alu instid0(VALU_DEP_2) | instskip(NEXT) | instid1(VALU_DEP_2)
	v_fma_f64 v[6:7], v[6:7], 2.0, -v[2:3]
	v_fma_f64 v[8:9], v[8:9], 2.0, -v[4:5]
	s_wait_loadcnt 0x0
	ds_store_b128 v0, v[2:5] offset:16
	ds_store_b128 v0, v[6:9]
	scratch_load_b32 v0, off, off offset:336 th:TH_LOAD_LU ; 4-byte Folded Reload
	v_add_f64_e64 v[2:3], v[10:11], -v[18:19]
	v_add_f64_e64 v[4:5], v[12:13], -v[20:21]
	s_delay_alu instid0(VALU_DEP_2) | instskip(NEXT) | instid1(VALU_DEP_2)
	v_fma_f64 v[6:7], v[10:11], 2.0, -v[2:3]
	v_fma_f64 v[8:9], v[12:13], 2.0, -v[4:5]
	s_wait_loadcnt 0x0
	ds_store_b128 v0, v[6:9]
	ds_store_b128 v0, v[2:5] offset:16
	scratch_load_b32 v0, off, off offset:332 th:TH_LOAD_LU ; 4-byte Folded Reload
	v_add_f64_e64 v[2:3], v[26:27], -v[22:23]
	v_add_f64_e64 v[4:5], v[28:29], -v[24:25]
	s_delay_alu instid0(VALU_DEP_2) | instskip(NEXT) | instid1(VALU_DEP_2)
	v_fma_f64 v[6:7], v[26:27], 2.0, -v[2:3]
	v_fma_f64 v[8:9], v[28:29], 2.0, -v[4:5]
	s_wait_loadcnt 0x0
	ds_store_b128 v0, v[6:9]
	ds_store_b128 v0, v[2:5] offset:16
	;; [unrolled: 9-line block ×8, first 2 shown]
	global_wb scope:SCOPE_SE
	s_wait_dscnt 0x0
	s_barrier_signal -1
	s_barrier_wait -1
	global_inv scope:SCOPE_SE
	ds_load_b128 v[2:5], v66 offset:8064
	ds_load_b128 v[6:9], v66 offset:7168
	s_wait_dscnt 0x1
	v_mul_f64_e32 v[0:1], v[74:75], v[4:5]
	s_delay_alu instid0(VALU_DEP_1) | instskip(SKIP_1) | instid1(VALU_DEP_1)
	v_fma_f64 v[0:1], v[72:73], v[2:3], v[0:1]
	v_mul_f64_e32 v[2:3], v[74:75], v[2:3]
	v_fma_f64 v[16:17], v[72:73], v[4:5], -v[2:3]
	ds_load_b128 v[2:5], v66 offset:8960
	ds_load_b128 v[10:13], v66 offset:9856
	s_wait_dscnt 0x1
	v_mul_f64_e32 v[14:15], v[74:75], v[4:5]
	s_delay_alu instid0(VALU_DEP_1) | instskip(SKIP_1) | instid1(VALU_DEP_1)
	v_fma_f64 v[42:43], v[72:73], v[2:3], v[14:15]
	v_mul_f64_e32 v[2:3], v[74:75], v[2:3]
	v_fma_f64 v[44:45], v[72:73], v[4:5], -v[2:3]
	s_wait_dscnt 0x0
	v_mul_f64_e32 v[2:3], v[74:75], v[12:13]
	s_delay_alu instid0(VALU_DEP_1) | instskip(SKIP_1) | instid1(VALU_DEP_1)
	v_fma_f64 v[46:47], v[72:73], v[10:11], v[2:3]
	v_mul_f64_e32 v[2:3], v[74:75], v[10:11]
	v_fma_f64 v[48:49], v[72:73], v[12:13], -v[2:3]
	ds_load_b128 v[2:5], v66 offset:10752
	ds_load_b128 v[10:13], v66 offset:11648
	s_wait_dscnt 0x1
	v_mul_f64_e32 v[14:15], v[74:75], v[4:5]
	s_delay_alu instid0(VALU_DEP_1) | instskip(SKIP_1) | instid1(VALU_DEP_1)
	v_fma_f64 v[50:51], v[72:73], v[2:3], v[14:15]
	v_mul_f64_e32 v[2:3], v[74:75], v[2:3]
	v_fma_f64 v[52:53], v[72:73], v[4:5], -v[2:3]
	s_wait_dscnt 0x0
	v_mul_f64_e32 v[2:3], v[74:75], v[12:13]
	s_delay_alu instid0(VALU_DEP_1) | instskip(SKIP_1) | instid1(VALU_DEP_1)
	v_fma_f64 v[54:55], v[72:73], v[10:11], v[2:3]
	v_mul_f64_e32 v[2:3], v[74:75], v[10:11]
	v_fma_f64 v[56:57], v[72:73], v[12:13], -v[2:3]
	ds_load_b128 v[2:5], v66 offset:12544
	ds_load_b128 v[10:13], v66 offset:13440
	s_wait_dscnt 0x1
	v_mul_f64_e32 v[14:15], v[74:75], v[4:5]
	s_delay_alu instid0(VALU_DEP_1) | instskip(SKIP_1) | instid1(VALU_DEP_1)
	v_fma_f64 v[58:59], v[72:73], v[2:3], v[14:15]
	v_mul_f64_e32 v[2:3], v[74:75], v[2:3]
	v_fma_f64 v[60:61], v[72:73], v[4:5], -v[2:3]
	s_wait_dscnt 0x0
	v_mul_f64_e32 v[2:3], v[74:75], v[12:13]
	s_delay_alu instid0(VALU_DEP_1) | instskip(SKIP_1) | instid1(VALU_DEP_1)
	v_fma_f64 v[62:63], v[72:73], v[10:11], v[2:3]
	v_mul_f64_e32 v[2:3], v[74:75], v[10:11]
	v_fma_f64 v[64:65], v[72:73], v[12:13], -v[2:3]
	ds_load_b128 v[2:5], v66 offset:14336
	ds_load_b128 v[10:13], v66 offset:15232
	s_wait_dscnt 0x1
	v_mul_f64_e32 v[14:15], v[74:75], v[4:5]
	s_delay_alu instid0(VALU_DEP_1) | instskip(SKIP_1) | instid1(VALU_DEP_1)
	v_fma_f64 v[67:68], v[72:73], v[2:3], v[14:15]
	v_mul_f64_e32 v[2:3], v[74:75], v[2:3]
	v_fma_f64 v[69:70], v[72:73], v[4:5], -v[2:3]
	s_wait_dscnt 0x0
	v_mul_f64_e32 v[2:3], v[74:75], v[12:13]
	s_delay_alu instid0(VALU_DEP_1) | instskip(SKIP_1) | instid1(VALU_DEP_1)
	v_fma_f64 v[92:93], v[72:73], v[10:11], v[2:3]
	v_mul_f64_e32 v[2:3], v[74:75], v[10:11]
	v_fma_f64 v[71:72], v[72:73], v[12:13], -v[2:3]
	ds_load_b128 v[2:5], v66
	ds_load_b128 v[10:13], v66 offset:896
	ds_load_b128 v[18:21], v66 offset:1792
	;; [unrolled: 1-line block ×7, first 2 shown]
	global_wb scope:SCOPE_SE
	s_wait_dscnt 0x0
	s_barrier_signal -1
	s_barrier_wait -1
	global_inv scope:SCOPE_SE
	v_add_f64_e64 v[14:15], v[2:3], -v[0:1]
	scratch_load_b32 v0, off, off offset:368 th:TH_LOAD_LU ; 4-byte Folded Reload
	v_add_f64_e64 v[16:17], v[4:5], -v[16:17]
	v_fma_f64 v[2:3], v[2:3], 2.0, -v[14:15]
	s_delay_alu instid0(VALU_DEP_2)
	v_fma_f64 v[4:5], v[4:5], 2.0, -v[16:17]
	s_wait_loadcnt 0x0
	ds_store_b128 v0, v[14:17] offset:32
	ds_store_b128 v0, v[2:5]
	scratch_load_b32 v0, off, off offset:376 th:TH_LOAD_LU ; 4-byte Folded Reload
	v_add_f64_e64 v[2:3], v[10:11], -v[42:43]
	v_add_f64_e64 v[4:5], v[12:13], -v[44:45]
	s_delay_alu instid0(VALU_DEP_2) | instskip(NEXT) | instid1(VALU_DEP_2)
	v_fma_f64 v[10:11], v[10:11], 2.0, -v[2:3]
	v_fma_f64 v[12:13], v[12:13], 2.0, -v[4:5]
	s_wait_loadcnt 0x0
	ds_store_b128 v0, v[10:13]
	ds_store_b128 v0, v[2:5] offset:32
	scratch_load_b32 v0, off, off offset:372 th:TH_LOAD_LU ; 4-byte Folded Reload
	v_add_f64_e64 v[2:3], v[18:19], -v[46:47]
	v_add_f64_e64 v[4:5], v[20:21], -v[48:49]
	s_delay_alu instid0(VALU_DEP_2) | instskip(NEXT) | instid1(VALU_DEP_2)
	v_fma_f64 v[10:11], v[18:19], 2.0, -v[2:3]
	v_fma_f64 v[12:13], v[20:21], 2.0, -v[4:5]
	s_wait_loadcnt 0x0
	ds_store_b128 v0, v[10:13]
	ds_store_b128 v0, v[2:5] offset:32
	;; [unrolled: 9-line block ×8, first 2 shown]
	global_wb scope:SCOPE_SE
	s_wait_dscnt 0x0
	s_barrier_signal -1
	s_barrier_wait -1
	global_inv scope:SCOPE_SE
	ds_load_b128 v[2:5], v66 offset:8064
	ds_load_b128 v[6:9], v66 offset:7168
	s_wait_dscnt 0x1
	v_mul_f64_e32 v[0:1], v[78:79], v[4:5]
	s_delay_alu instid0(VALU_DEP_1) | instskip(SKIP_1) | instid1(VALU_DEP_1)
	v_fma_f64 v[0:1], v[76:77], v[2:3], v[0:1]
	v_mul_f64_e32 v[2:3], v[78:79], v[2:3]
	v_fma_f64 v[16:17], v[76:77], v[4:5], -v[2:3]
	ds_load_b128 v[2:5], v66 offset:8960
	ds_load_b128 v[10:13], v66 offset:9856
	s_wait_dscnt 0x1
	v_mul_f64_e32 v[14:15], v[78:79], v[4:5]
	s_delay_alu instid0(VALU_DEP_1) | instskip(SKIP_1) | instid1(VALU_DEP_1)
	v_fma_f64 v[42:43], v[76:77], v[2:3], v[14:15]
	v_mul_f64_e32 v[2:3], v[78:79], v[2:3]
	v_fma_f64 v[44:45], v[76:77], v[4:5], -v[2:3]
	s_wait_dscnt 0x0
	v_mul_f64_e32 v[2:3], v[78:79], v[12:13]
	s_delay_alu instid0(VALU_DEP_1) | instskip(SKIP_1) | instid1(VALU_DEP_1)
	v_fma_f64 v[46:47], v[76:77], v[10:11], v[2:3]
	v_mul_f64_e32 v[2:3], v[78:79], v[10:11]
	v_fma_f64 v[48:49], v[76:77], v[12:13], -v[2:3]
	ds_load_b128 v[2:5], v66 offset:10752
	ds_load_b128 v[10:13], v66 offset:11648
	s_wait_dscnt 0x1
	v_mul_f64_e32 v[14:15], v[78:79], v[4:5]
	s_delay_alu instid0(VALU_DEP_1) | instskip(SKIP_1) | instid1(VALU_DEP_1)
	v_fma_f64 v[50:51], v[76:77], v[2:3], v[14:15]
	v_mul_f64_e32 v[2:3], v[78:79], v[2:3]
	v_fma_f64 v[52:53], v[76:77], v[4:5], -v[2:3]
	;; [unrolled: 14-line block ×4, first 2 shown]
	s_wait_dscnt 0x0
	v_mul_f64_e32 v[2:3], v[78:79], v[12:13]
	s_delay_alu instid0(VALU_DEP_1) | instskip(SKIP_1) | instid1(VALU_DEP_1)
	v_fma_f64 v[71:72], v[76:77], v[10:11], v[2:3]
	v_mul_f64_e32 v[2:3], v[78:79], v[10:11]
	v_fma_f64 v[73:74], v[76:77], v[12:13], -v[2:3]
	ds_load_b128 v[2:5], v66
	ds_load_b128 v[10:13], v66 offset:896
	ds_load_b128 v[18:21], v66 offset:1792
	;; [unrolled: 1-line block ×7, first 2 shown]
	global_wb scope:SCOPE_SE
	s_wait_dscnt 0x0
	s_barrier_signal -1
	s_barrier_wait -1
	global_inv scope:SCOPE_SE
	v_add_f64_e64 v[14:15], v[2:3], -v[0:1]
	scratch_load_b32 v0, off, off offset:460 th:TH_LOAD_LU ; 4-byte Folded Reload
	v_add_f64_e64 v[16:17], v[4:5], -v[16:17]
	v_fma_f64 v[2:3], v[2:3], 2.0, -v[14:15]
	s_delay_alu instid0(VALU_DEP_2)
	v_fma_f64 v[4:5], v[4:5], 2.0, -v[16:17]
	s_wait_loadcnt 0x0
	ds_store_b128 v0, v[14:17] offset:64
	ds_store_b128 v0, v[2:5]
	scratch_load_b32 v0, off, off offset:468 th:TH_LOAD_LU ; 4-byte Folded Reload
	v_add_f64_e64 v[2:3], v[10:11], -v[42:43]
	v_add_f64_e64 v[4:5], v[12:13], -v[44:45]
	s_delay_alu instid0(VALU_DEP_2) | instskip(NEXT) | instid1(VALU_DEP_2)
	v_fma_f64 v[10:11], v[10:11], 2.0, -v[2:3]
	v_fma_f64 v[12:13], v[12:13], 2.0, -v[4:5]
	s_wait_loadcnt 0x0
	ds_store_b128 v0, v[10:13]
	ds_store_b128 v0, v[2:5] offset:64
	scratch_load_b32 v0, off, off offset:464 th:TH_LOAD_LU ; 4-byte Folded Reload
	v_add_f64_e64 v[2:3], v[18:19], -v[46:47]
	v_add_f64_e64 v[4:5], v[20:21], -v[48:49]
	s_delay_alu instid0(VALU_DEP_2) | instskip(NEXT) | instid1(VALU_DEP_2)
	v_fma_f64 v[10:11], v[18:19], 2.0, -v[2:3]
	v_fma_f64 v[12:13], v[20:21], 2.0, -v[4:5]
	s_wait_loadcnt 0x0
	ds_store_b128 v0, v[10:13]
	ds_store_b128 v0, v[2:5] offset:64
	;; [unrolled: 9-line block ×8, first 2 shown]
	global_wb scope:SCOPE_SE
	s_wait_dscnt 0x0
	s_barrier_signal -1
	s_barrier_wait -1
	global_inv scope:SCOPE_SE
	ds_load_b128 v[2:5], v66 offset:8064
	ds_load_b128 v[6:9], v66 offset:7168
	s_wait_dscnt 0x1
	v_mul_f64_e32 v[0:1], v[82:83], v[4:5]
	s_delay_alu instid0(VALU_DEP_1) | instskip(SKIP_1) | instid1(VALU_DEP_1)
	v_fma_f64 v[0:1], v[80:81], v[2:3], v[0:1]
	v_mul_f64_e32 v[2:3], v[82:83], v[2:3]
	v_fma_f64 v[16:17], v[80:81], v[4:5], -v[2:3]
	ds_load_b128 v[2:5], v66 offset:8960
	ds_load_b128 v[10:13], v66 offset:9856
	s_wait_dscnt 0x1
	v_mul_f64_e32 v[14:15], v[82:83], v[4:5]
	s_delay_alu instid0(VALU_DEP_1) | instskip(SKIP_1) | instid1(VALU_DEP_1)
	v_fma_f64 v[42:43], v[80:81], v[2:3], v[14:15]
	v_mul_f64_e32 v[2:3], v[82:83], v[2:3]
	v_fma_f64 v[44:45], v[80:81], v[4:5], -v[2:3]
	s_wait_dscnt 0x0
	v_mul_f64_e32 v[2:3], v[82:83], v[12:13]
	s_delay_alu instid0(VALU_DEP_1) | instskip(SKIP_1) | instid1(VALU_DEP_1)
	v_fma_f64 v[46:47], v[80:81], v[10:11], v[2:3]
	v_mul_f64_e32 v[2:3], v[82:83], v[10:11]
	v_fma_f64 v[48:49], v[80:81], v[12:13], -v[2:3]
	ds_load_b128 v[2:5], v66 offset:10752
	ds_load_b128 v[10:13], v66 offset:11648
	s_wait_dscnt 0x1
	v_mul_f64_e32 v[14:15], v[82:83], v[4:5]
	s_delay_alu instid0(VALU_DEP_1) | instskip(SKIP_1) | instid1(VALU_DEP_1)
	v_fma_f64 v[50:51], v[80:81], v[2:3], v[14:15]
	v_mul_f64_e32 v[2:3], v[82:83], v[2:3]
	v_fma_f64 v[52:53], v[80:81], v[4:5], -v[2:3]
	;; [unrolled: 14-line block ×4, first 2 shown]
	s_wait_dscnt 0x0
	v_mul_f64_e32 v[2:3], v[82:83], v[12:13]
	s_delay_alu instid0(VALU_DEP_1) | instskip(SKIP_1) | instid1(VALU_DEP_1)
	v_fma_f64 v[71:72], v[80:81], v[10:11], v[2:3]
	v_mul_f64_e32 v[2:3], v[82:83], v[10:11]
	v_fma_f64 v[73:74], v[80:81], v[12:13], -v[2:3]
	ds_load_b128 v[2:5], v66
	ds_load_b128 v[10:13], v66 offset:896
	ds_load_b128 v[18:21], v66 offset:1792
	;; [unrolled: 1-line block ×7, first 2 shown]
	global_wb scope:SCOPE_SE
	s_wait_dscnt 0x0
	s_barrier_signal -1
	s_barrier_wait -1
	global_inv scope:SCOPE_SE
	v_add_f64_e64 v[14:15], v[2:3], -v[0:1]
	scratch_load_b32 v0, off, off offset:504 th:TH_LOAD_LU ; 4-byte Folded Reload
	v_add_f64_e64 v[16:17], v[4:5], -v[16:17]
	v_fma_f64 v[2:3], v[2:3], 2.0, -v[14:15]
	s_delay_alu instid0(VALU_DEP_2)
	v_fma_f64 v[4:5], v[4:5], 2.0, -v[16:17]
	s_wait_loadcnt 0x0
	ds_store_b128 v0, v[14:17] offset:128
	ds_store_b128 v0, v[2:5]
	scratch_load_b32 v0, off, off offset:512 th:TH_LOAD_LU ; 4-byte Folded Reload
	v_add_f64_e64 v[2:3], v[10:11], -v[42:43]
	v_add_f64_e64 v[4:5], v[12:13], -v[44:45]
	s_delay_alu instid0(VALU_DEP_2) | instskip(NEXT) | instid1(VALU_DEP_2)
	v_fma_f64 v[10:11], v[10:11], 2.0, -v[2:3]
	v_fma_f64 v[12:13], v[12:13], 2.0, -v[4:5]
	s_wait_loadcnt 0x0
	ds_store_b128 v0, v[10:13]
	ds_store_b128 v0, v[2:5] offset:128
	scratch_load_b32 v0, off, off offset:508 th:TH_LOAD_LU ; 4-byte Folded Reload
	v_add_f64_e64 v[2:3], v[18:19], -v[46:47]
	v_add_f64_e64 v[4:5], v[20:21], -v[48:49]
	s_delay_alu instid0(VALU_DEP_2) | instskip(NEXT) | instid1(VALU_DEP_2)
	v_fma_f64 v[10:11], v[18:19], 2.0, -v[2:3]
	v_fma_f64 v[12:13], v[20:21], 2.0, -v[4:5]
	s_wait_loadcnt 0x0
	ds_store_b128 v0, v[10:13]
	ds_store_b128 v0, v[2:5] offset:128
	;; [unrolled: 9-line block ×8, first 2 shown]
	global_wb scope:SCOPE_SE
	s_wait_dscnt 0x0
	s_barrier_signal -1
	s_barrier_wait -1
	global_inv scope:SCOPE_SE
	ds_load_b128 v[2:5], v66 offset:8064
	ds_load_b128 v[6:9], v66 offset:7168
	s_wait_dscnt 0x1
	v_mul_f64_e32 v[0:1], v[114:115], v[4:5]
	s_delay_alu instid0(VALU_DEP_1) | instskip(SKIP_1) | instid1(VALU_DEP_1)
	v_fma_f64 v[32:33], v[112:113], v[2:3], v[0:1]
	v_mul_f64_e32 v[0:1], v[114:115], v[2:3]
	v_fma_f64 v[34:35], v[112:113], v[4:5], -v[0:1]
	ds_load_b128 v[2:5], v66 offset:13440
	ds_load_b128 v[10:13], v66 offset:12544
	s_wait_dscnt 0x1
	v_mul_f64_e32 v[0:1], v[110:111], v[4:5]
	s_delay_alu instid0(VALU_DEP_1) | instskip(SKIP_1) | instid1(VALU_DEP_1)
	v_fma_f64 v[36:37], v[108:109], v[2:3], v[0:1]
	v_mul_f64_e32 v[0:1], v[110:111], v[2:3]
	v_fma_f64 v[38:39], v[108:109], v[4:5], -v[0:1]
	;; [unrolled: 8-line block ×3, first 2 shown]
	v_mul_f64_e32 v[0:1], v[86:87], v[8:9]
	s_delay_alu instid0(VALU_DEP_1) | instskip(SKIP_1) | instid1(VALU_DEP_1)
	v_fma_f64 v[40:41], v[84:85], v[6:7], v[0:1]
	v_mul_f64_e32 v[0:1], v[86:87], v[6:7]
	v_fma_f64 v[42:43], v[84:85], v[8:9], -v[0:1]
	ds_load_b128 v[2:5], v66 offset:8960
	ds_load_b128 v[6:9], v66 offset:9856
	s_wait_dscnt 0x1
	v_mul_f64_e32 v[0:1], v[86:87], v[4:5]
	s_delay_alu instid0(VALU_DEP_1) | instskip(SKIP_1) | instid1(VALU_DEP_1)
	v_fma_f64 v[44:45], v[84:85], v[2:3], v[0:1]
	v_mul_f64_e32 v[0:1], v[86:87], v[2:3]
	v_fma_f64 v[46:47], v[84:85], v[4:5], -v[0:1]
	ds_load_b128 v[2:5], v66 offset:10752
	ds_load_b128 v[18:21], v66 offset:11648
	s_wait_dscnt 0x1
	v_mul_f64_e32 v[0:1], v[90:91], v[4:5]
	s_delay_alu instid0(VALU_DEP_1) | instskip(SKIP_1) | instid1(VALU_DEP_1)
	v_fma_f64 v[26:27], v[88:89], v[2:3], v[0:1]
	v_mul_f64_e32 v[0:1], v[90:91], v[2:3]
	v_fma_f64 v[28:29], v[88:89], v[4:5], -v[0:1]
	v_mul_f64_e32 v[0:1], v[90:91], v[12:13]
	s_delay_alu instid0(VALU_DEP_1) | instskip(SKIP_1) | instid1(VALU_DEP_1)
	v_fma_f64 v[48:49], v[88:89], v[10:11], v[0:1]
	v_mul_f64_e32 v[0:1], v[90:91], v[10:11]
	v_fma_f64 v[50:51], v[88:89], v[12:13], -v[0:1]
	ds_load_b128 v[2:5], v66 offset:14336
	ds_load_b128 v[10:13], v66 offset:15232
	scratch_load_b128 v[58:61], off, off offset:420 th:TH_LOAD_LU ; 16-byte Folded Reload
	s_wait_dscnt 0x1
	v_mul_f64_e32 v[0:1], v[90:91], v[4:5]
	s_delay_alu instid0(VALU_DEP_1)
	v_fma_f64 v[52:53], v[88:89], v[2:3], v[0:1]
	v_mul_f64_e32 v[0:1], v[90:91], v[2:3]
	scratch_load_b64 v[2:3], off, off offset:472 th:TH_LOAD_LU ; 8-byte Folded Reload
	v_fma_f64 v[54:55], v[88:89], v[4:5], -v[0:1]
	scratch_load_b64 v[4:5], off, off offset:380 th:TH_LOAD_LU ; 8-byte Folded Reload
	s_wait_loadcnt_dscnt 0x100
	v_mul_f64_e32 v[0:1], v[2:3], v[12:13]
	v_mul_f64_e32 v[2:3], v[2:3], v[10:11]
	s_delay_alu instid0(VALU_DEP_2) | instskip(NEXT) | instid1(VALU_DEP_2)
	v_fma_f64 v[56:57], v[58:59], v[10:11], v[0:1]
	v_fma_f64 v[58:59], v[58:59], v[12:13], -v[2:3]
	scratch_load_b128 v[10:13], off, off offset:404 th:TH_LOAD_LU ; 16-byte Folded Reload
	v_mul_f64_e32 v[0:1], v[60:61], v[20:21]
	v_mul_f64_e32 v[2:3], v[60:61], v[18:19]
	s_wait_loadcnt 0x0
	s_delay_alu instid0(VALU_DEP_2) | instskip(NEXT) | instid1(VALU_DEP_2)
	v_fma_f64 v[60:61], v[12:13], v[18:19], v[0:1]
	v_fma_f64 v[62:63], v[12:13], v[20:21], -v[2:3]
	v_mul_f64_e32 v[0:1], v[10:11], v[8:9]
	v_mul_f64_e32 v[2:3], v[10:11], v[6:7]
	scratch_load_b128 v[10:13], off, off offset:388 th:TH_LOAD_LU ; 16-byte Folded Reload
	s_wait_loadcnt 0x0
	v_fma_f64 v[64:65], v[10:11], v[6:7], v[0:1]
	v_fma_f64 v[67:68], v[10:11], v[8:9], -v[2:3]
	v_mul_f64_e32 v[0:1], v[12:13], v[16:17]
	v_mul_f64_e32 v[2:3], v[12:13], v[14:15]
	v_add_f64_e32 v[8:9], v[22:23], v[26:27]
	v_add_f64_e64 v[12:13], v[24:25], -v[28:29]
	s_delay_alu instid0(VALU_DEP_4) | instskip(NEXT) | instid1(VALU_DEP_4)
	v_fma_f64 v[69:70], v[4:5], v[14:15], v[0:1]
	v_fma_f64 v[71:72], v[4:5], v[16:17], -v[2:3]
	ds_load_b128 v[0:3], v66
	ds_load_b128 v[4:7], v66 offset:896
	v_add_f64_e64 v[16:17], v[22:23], -v[26:27]
	s_wait_dscnt 0x1
	v_fma_f64 v[10:11], v[8:9], -0.5, v[0:1]
	v_add_f64_e32 v[8:9], v[24:25], v[28:29]
	v_add_f64_e32 v[0:1], v[0:1], v[22:23]
	s_delay_alu instid0(VALU_DEP_2) | instskip(SKIP_1) | instid1(VALU_DEP_3)
	v_fma_f64 v[14:15], v[8:9], -0.5, v[2:3]
	v_add_f64_e32 v[2:3], v[2:3], v[24:25]
	v_add_f64_e32 v[0:1], v[0:1], v[26:27]
	v_fma_f64 v[8:9], v[12:13], s[0:1], v[10:11]
	s_wait_alu 0xfffe
	v_fma_f64 v[12:13], v[12:13], s[8:9], v[10:11]
	v_fma_f64 v[10:11], v[16:17], s[8:9], v[14:15]
	v_add_f64_e32 v[2:3], v[2:3], v[28:29]
	v_fma_f64 v[14:15], v[16:17], s[0:1], v[14:15]
	ds_load_b128 v[16:19], v66 offset:1792
	ds_load_b128 v[20:23], v66 offset:2688
	;; [unrolled: 1-line block ×4, first 2 shown]
	global_wb scope:SCOPE_SE
	s_wait_dscnt 0x0
	s_barrier_signal -1
	s_barrier_wait -1
	global_inv scope:SCOPE_SE
	scratch_load_b32 v73, off, off offset:560 th:TH_LOAD_LU ; 4-byte Folded Reload
	s_wait_loadcnt 0x0
	ds_store_b128 v73, v[0:3]
	ds_store_b128 v73, v[8:11] offset:256
	ds_store_b128 v73, v[12:15] offset:512
	v_add_f64_e32 v[0:1], v[69:70], v[60:61]
	v_add_f64_e64 v[12:13], v[69:70], -v[60:61]
	s_delay_alu instid0(VALU_DEP_2) | instskip(SKIP_2) | instid1(VALU_DEP_2)
	v_fma_f64 v[8:9], v[0:1], -0.5, v[4:5]
	v_add_f64_e32 v[0:1], v[71:72], v[62:63]
	v_add_f64_e32 v[4:5], v[4:5], v[69:70]
	v_fma_f64 v[10:11], v[0:1], -0.5, v[6:7]
	v_add_f64_e32 v[0:1], v[6:7], v[71:72]
	v_add_f64_e64 v[6:7], v[71:72], -v[62:63]
	s_delay_alu instid0(VALU_DEP_2) | instskip(SKIP_1) | instid1(VALU_DEP_3)
	v_add_f64_e32 v[2:3], v[0:1], v[62:63]
	v_add_f64_e32 v[0:1], v[4:5], v[60:61]
	v_fma_f64 v[4:5], v[6:7], s[0:1], v[8:9]
	v_fma_f64 v[8:9], v[6:7], s[8:9], v[8:9]
	v_fma_f64 v[6:7], v[12:13], s[8:9], v[10:11]
	v_fma_f64 v[10:11], v[12:13], s[0:1], v[10:11]
	scratch_load_b32 v12, off, off offset:556 th:TH_LOAD_LU ; 4-byte Folded Reload
	s_wait_loadcnt 0x0
	ds_store_b128 v12, v[0:3]
	ds_store_b128 v12, v[4:7] offset:256
	ds_store_b128 v12, v[8:11] offset:512
	v_add_f64_e32 v[0:1], v[40:41], v[48:49]
	v_add_f64_e32 v[4:5], v[16:17], v[40:41]
	v_add_f64_e64 v[8:9], v[42:43], -v[50:51]
	v_add_f64_e64 v[12:13], v[40:41], -v[48:49]
	s_delay_alu instid0(VALU_DEP_4) | instskip(SKIP_1) | instid1(VALU_DEP_1)
	v_fma_f64 v[6:7], v[0:1], -0.5, v[16:17]
	v_add_f64_e32 v[0:1], v[42:43], v[50:51]
	v_fma_f64 v[10:11], v[0:1], -0.5, v[18:19]
	v_add_f64_e32 v[0:1], v[18:19], v[42:43]
	s_delay_alu instid0(VALU_DEP_1)
	v_add_f64_e32 v[2:3], v[0:1], v[50:51]
	v_add_f64_e32 v[0:1], v[4:5], v[48:49]
	v_fma_f64 v[4:5], v[8:9], s[0:1], v[6:7]
	v_fma_f64 v[8:9], v[8:9], s[8:9], v[6:7]
	v_fma_f64 v[6:7], v[12:13], s[8:9], v[10:11]
	v_fma_f64 v[10:11], v[12:13], s[0:1], v[10:11]
	scratch_load_b32 v12, off, off offset:552 th:TH_LOAD_LU ; 4-byte Folded Reload
	s_wait_loadcnt 0x0
	ds_store_b128 v12, v[0:3]
	ds_store_b128 v12, v[4:7] offset:256
	ds_store_b128 v12, v[8:11] offset:512
	v_add_f64_e32 v[0:1], v[32:33], v[36:37]
	v_add_f64_e32 v[4:5], v[20:21], v[32:33]
	v_add_f64_e64 v[8:9], v[34:35], -v[38:39]
	v_add_f64_e64 v[12:13], v[32:33], -v[36:37]
	s_delay_alu instid0(VALU_DEP_4) | instskip(SKIP_1) | instid1(VALU_DEP_1)
	v_fma_f64 v[6:7], v[0:1], -0.5, v[20:21]
	v_add_f64_e32 v[0:1], v[34:35], v[38:39]
	v_fma_f64 v[10:11], v[0:1], -0.5, v[22:23]
	v_add_f64_e32 v[0:1], v[22:23], v[34:35]
	s_delay_alu instid0(VALU_DEP_1)
	;; [unrolled: 21-line block ×4, first 2 shown]
	v_add_f64_e32 v[2:3], v[0:1], v[58:59]
	v_add_f64_e32 v[0:1], v[4:5], v[56:57]
	v_fma_f64 v[4:5], v[8:9], s[0:1], v[6:7]
	v_fma_f64 v[8:9], v[8:9], s[8:9], v[6:7]
	;; [unrolled: 1-line block ×4, first 2 shown]
	scratch_load_b32 v12, off, off offset:528 th:TH_LOAD_LU ; 4-byte Folded Reload
	s_wait_loadcnt 0x0
	ds_store_b128 v12, v[0:3]
	ds_store_b128 v12, v[4:7] offset:256
	ds_store_b128 v12, v[8:11] offset:512
	global_wb scope:SCOPE_SE
	s_wait_dscnt 0x0
	s_barrier_signal -1
	s_barrier_wait -1
	global_inv scope:SCOPE_SE
	ds_load_b128 v[0:3], v66 offset:5376
	ds_load_b128 v[4:7], v66 offset:6272
	s_wait_dscnt 0x1
	v_mul_f64_e32 v[8:9], v[106:107], v[2:3]
	v_mul_f64_e32 v[10:11], v[106:107], v[0:1]
	s_delay_alu instid0(VALU_DEP_2) | instskip(NEXT) | instid1(VALU_DEP_2)
	v_fma_f64 v[12:13], v[104:105], v[0:1], v[8:9]
	v_fma_f64 v[14:15], v[104:105], v[2:3], -v[10:11]
	ds_load_b128 v[0:3], v66 offset:10752
	ds_load_b128 v[8:11], v66 offset:11648
	s_wait_dscnt 0x1
	v_mul_f64_e32 v[16:17], v[134:135], v[2:3]
	s_delay_alu instid0(VALU_DEP_1) | instskip(SKIP_1) | instid1(VALU_DEP_1)
	v_fma_f64 v[16:17], v[132:133], v[0:1], v[16:17]
	v_mul_f64_e32 v[0:1], v[134:135], v[0:1]
	v_fma_f64 v[18:19], v[132:133], v[2:3], -v[0:1]
	v_mul_f64_e32 v[0:1], v[162:163], v[6:7]
	v_mul_f64_e32 v[2:3], v[162:163], v[4:5]
	s_delay_alu instid0(VALU_DEP_3) | instskip(NEXT) | instid1(VALU_DEP_3)
	v_add_f64_e32 v[22:23], v[14:15], v[18:19]
	v_fma_f64 v[32:33], v[160:161], v[4:5], v[0:1]
	s_delay_alu instid0(VALU_DEP_3)
	v_fma_f64 v[34:35], v[160:161], v[6:7], -v[2:3]
	s_wait_dscnt 0x0
	v_mul_f64_e32 v[4:5], v[150:151], v[10:11]
	v_mul_f64_e32 v[6:7], v[150:151], v[8:9]
	ds_load_b128 v[0:3], v66 offset:7168
	v_fma_f64 v[36:37], v[148:149], v[8:9], v[4:5]
	v_fma_f64 v[38:39], v[148:149], v[10:11], -v[6:7]
	ds_load_b128 v[4:7], v66 offset:8064
	s_wait_dscnt 0x1
	v_mul_f64_e32 v[8:9], v[158:159], v[2:3]
	v_mul_f64_e32 v[10:11], v[158:159], v[0:1]
	s_delay_alu instid0(VALU_DEP_2) | instskip(NEXT) | instid1(VALU_DEP_2)
	v_fma_f64 v[40:41], v[156:157], v[0:1], v[8:9]
	v_fma_f64 v[42:43], v[156:157], v[2:3], -v[10:11]
	ds_load_b128 v[0:3], v66 offset:12544
	ds_load_b128 v[8:11], v66 offset:13440
	s_wait_dscnt 0x1
	v_mul_f64_e32 v[20:21], v[154:155], v[2:3]
	s_delay_alu instid0(VALU_DEP_1) | instskip(SKIP_1) | instid1(VALU_DEP_1)
	v_fma_f64 v[44:45], v[152:153], v[0:1], v[20:21]
	v_mul_f64_e32 v[0:1], v[154:155], v[0:1]
	v_fma_f64 v[46:47], v[152:153], v[2:3], -v[0:1]
	v_mul_f64_e32 v[0:1], v[174:175], v[6:7]
	v_mul_f64_e32 v[2:3], v[174:175], v[4:5]
	s_delay_alu instid0(VALU_DEP_2) | instskip(NEXT) | instid1(VALU_DEP_2)
	v_fma_f64 v[48:49], v[172:173], v[4:5], v[0:1]
	v_fma_f64 v[50:51], v[172:173], v[6:7], -v[2:3]
	s_wait_dscnt 0x0
	v_mul_f64_e32 v[4:5], v[166:167], v[10:11]
	v_mul_f64_e32 v[6:7], v[166:167], v[8:9]
	ds_load_b128 v[0:3], v66 offset:8960
	v_fma_f64 v[52:53], v[164:165], v[8:9], v[4:5]
	v_fma_f64 v[54:55], v[164:165], v[10:11], -v[6:7]
	ds_load_b128 v[4:7], v66 offset:9856
	s_wait_dscnt 0x1
	v_mul_f64_e32 v[8:9], v[170:171], v[2:3]
	v_mul_f64_e32 v[10:11], v[170:171], v[0:1]
	s_delay_alu instid0(VALU_DEP_2) | instskip(NEXT) | instid1(VALU_DEP_2)
	v_fma_f64 v[56:57], v[168:169], v[0:1], v[8:9]
	v_fma_f64 v[58:59], v[168:169], v[2:3], -v[10:11]
	ds_load_b128 v[0:3], v66 offset:14336
	ds_load_b128 v[8:11], v66 offset:15232
	s_wait_dscnt 0x1
	v_mul_f64_e32 v[20:21], v[178:179], v[2:3]
	s_delay_alu instid0(VALU_DEP_1) | instskip(SKIP_2) | instid1(VALU_DEP_2)
	v_fma_f64 v[60:61], v[176:177], v[0:1], v[20:21]
	v_mul_f64_e32 v[0:1], v[178:179], v[0:1]
	v_add_f64_e32 v[20:21], v[12:13], v[16:17]
	v_fma_f64 v[62:63], v[176:177], v[2:3], -v[0:1]
	v_mul_f64_e32 v[0:1], v[186:187], v[6:7]
	v_mul_f64_e32 v[2:3], v[186:187], v[4:5]
	s_delay_alu instid0(VALU_DEP_2) | instskip(NEXT) | instid1(VALU_DEP_2)
	v_fma_f64 v[64:65], v[184:185], v[4:5], v[0:1]
	v_fma_f64 v[67:68], v[184:185], v[6:7], -v[2:3]
	s_wait_dscnt 0x0
	v_mul_f64_e32 v[0:1], v[118:119], v[10:11]
	v_mul_f64_e32 v[2:3], v[118:119], v[8:9]
	s_delay_alu instid0(VALU_DEP_2) | instskip(NEXT) | instid1(VALU_DEP_2)
	v_fma_f64 v[69:70], v[116:117], v[8:9], v[0:1]
	v_fma_f64 v[76:77], v[116:117], v[10:11], -v[2:3]
	ds_load_b128 v[0:3], v66
	ds_load_b128 v[4:7], v66 offset:896
	s_wait_dscnt 0x1
	v_fma_f64 v[10:11], v[20:21], -0.5, v[0:1]
	v_fma_f64 v[20:21], v[22:23], -0.5, v[2:3]
	v_add_f64_e32 v[2:3], v[2:3], v[14:15]
	v_add_f64_e32 v[0:1], v[0:1], v[12:13]
	v_add_f64_e64 v[14:15], v[14:15], -v[18:19]
	v_add_f64_e64 v[22:23], v[12:13], -v[16:17]
	s_delay_alu instid0(VALU_DEP_4) | instskip(NEXT) | instid1(VALU_DEP_4)
	v_add_f64_e32 v[2:3], v[2:3], v[18:19]
	v_add_f64_e32 v[0:1], v[0:1], v[16:17]
	s_delay_alu instid0(VALU_DEP_4)
	v_fma_f64 v[8:9], v[14:15], s[0:1], v[10:11]
	v_fma_f64 v[12:13], v[14:15], s[8:9], v[10:11]
	;; [unrolled: 1-line block ×4, first 2 shown]
	ds_load_b128 v[16:19], v66 offset:1792
	ds_load_b128 v[20:23], v66 offset:2688
	;; [unrolled: 1-line block ×4, first 2 shown]
	global_wb scope:SCOPE_SE
	s_wait_dscnt 0x0
	s_barrier_signal -1
	s_barrier_wait -1
	global_inv scope:SCOPE_SE
	scratch_load_b32 v71, off, off offset:536 th:TH_LOAD_LU ; 4-byte Folded Reload
	s_wait_loadcnt 0x0
	ds_store_b128 v71, v[0:3]
	ds_store_b128 v71, v[8:11] offset:768
	ds_store_b128 v71, v[12:15] offset:1536
	v_add_f64_e32 v[0:1], v[32:33], v[36:37]
	v_add_f64_e64 v[12:13], v[32:33], -v[36:37]
	s_delay_alu instid0(VALU_DEP_2) | instskip(SKIP_2) | instid1(VALU_DEP_2)
	v_fma_f64 v[8:9], v[0:1], -0.5, v[4:5]
	v_add_f64_e32 v[0:1], v[34:35], v[38:39]
	v_add_f64_e32 v[4:5], v[4:5], v[32:33]
	v_fma_f64 v[10:11], v[0:1], -0.5, v[6:7]
	v_add_f64_e32 v[0:1], v[6:7], v[34:35]
	v_add_f64_e64 v[6:7], v[34:35], -v[38:39]
	s_delay_alu instid0(VALU_DEP_2) | instskip(SKIP_1) | instid1(VALU_DEP_3)
	v_add_f64_e32 v[2:3], v[0:1], v[38:39]
	v_add_f64_e32 v[0:1], v[4:5], v[36:37]
	v_fma_f64 v[4:5], v[6:7], s[0:1], v[8:9]
	v_fma_f64 v[8:9], v[6:7], s[8:9], v[8:9]
	;; [unrolled: 1-line block ×4, first 2 shown]
	v_add_f64_e32 v[12:13], v[40:41], v[44:45]
	v_add_f64_e64 v[36:37], v[40:41], -v[44:45]
	s_delay_alu instid0(VALU_DEP_2) | instskip(SKIP_3) | instid1(VALU_DEP_3)
	v_fma_f64 v[32:33], v[12:13], -0.5, v[16:17]
	v_add_f64_e32 v[12:13], v[42:43], v[46:47]
	v_add_f64_e32 v[16:17], v[16:17], v[40:41]
	v_add_f64_e64 v[40:41], v[50:51], -v[54:55]
	v_fma_f64 v[34:35], v[12:13], -0.5, v[18:19]
	v_add_f64_e32 v[12:13], v[18:19], v[42:43]
	v_add_f64_e64 v[18:19], v[42:43], -v[46:47]
	s_delay_alu instid0(VALU_DEP_2) | instskip(SKIP_1) | instid1(VALU_DEP_3)
	v_add_f64_e32 v[14:15], v[12:13], v[46:47]
	v_add_f64_e32 v[12:13], v[16:17], v[44:45]
	v_fma_f64 v[16:17], v[18:19], s[0:1], v[32:33]
	v_fma_f64 v[32:33], v[18:19], s[8:9], v[32:33]
	;; [unrolled: 1-line block ×4, first 2 shown]
	v_add_f64_e32 v[36:37], v[48:49], v[52:53]
	v_add_f64_e64 v[44:45], v[48:49], -v[52:53]
	s_delay_alu instid0(VALU_DEP_2) | instskip(SKIP_2) | instid1(VALU_DEP_2)
	v_fma_f64 v[38:39], v[36:37], -0.5, v[20:21]
	v_add_f64_e32 v[36:37], v[50:51], v[54:55]
	v_add_f64_e32 v[20:21], v[20:21], v[48:49]
	v_fma_f64 v[42:43], v[36:37], -0.5, v[22:23]
	s_delay_alu instid0(VALU_DEP_4)
	v_fma_f64 v[36:37], v[40:41], s[0:1], v[38:39]
	v_fma_f64 v[40:41], v[40:41], s[8:9], v[38:39]
	v_add_f64_e32 v[22:23], v[22:23], v[50:51]
	v_add_f64_e32 v[20:21], v[20:21], v[52:53]
	v_add_f64_e64 v[50:51], v[58:59], -v[62:63]
	v_add_f64_e64 v[52:53], v[56:57], -v[60:61]
	v_fma_f64 v[38:39], v[44:45], s[8:9], v[42:43]
	v_fma_f64 v[42:43], v[44:45], s[0:1], v[42:43]
	v_add_f64_e32 v[44:45], v[56:57], v[60:61]
	v_add_f64_e32 v[22:23], v[22:23], v[54:55]
	s_delay_alu instid0(VALU_DEP_2) | instskip(SKIP_2) | instid1(VALU_DEP_3)
	v_fma_f64 v[46:47], v[44:45], -0.5, v[24:25]
	v_add_f64_e32 v[44:45], v[58:59], v[62:63]
	v_add_f64_e32 v[24:25], v[24:25], v[56:57]
	v_fma_f64 v[72:73], v[50:51], s[8:9], v[46:47]
	s_delay_alu instid0(VALU_DEP_3)
	v_fma_f64 v[48:49], v[44:45], -0.5, v[26:27]
	v_fma_f64 v[44:45], v[50:51], s[0:1], v[46:47]
	v_add_f64_e32 v[50:51], v[67:68], v[76:77]
	v_add_f64_e32 v[26:27], v[26:27], v[58:59]
	;; [unrolled: 1-line block ×3, first 2 shown]
	v_fma_f64 v[46:47], v[52:53], s[8:9], v[48:49]
	v_fma_f64 v[74:75], v[52:53], s[0:1], v[48:49]
	v_add_f64_e32 v[48:49], v[64:65], v[69:70]
	v_fma_f64 v[50:51], v[50:51], -0.5, v[30:31]
	v_add_f64_e32 v[30:31], v[30:31], v[67:68]
	v_add_f64_e64 v[52:53], v[67:68], -v[76:77]
	v_add_f64_e32 v[26:27], v[26:27], v[62:63]
	v_fma_f64 v[48:49], v[48:49], -0.5, v[28:29]
	v_add_f64_e32 v[28:29], v[28:29], v[64:65]
	v_add_f64_e32 v[78:79], v[30:31], v[76:77]
	s_delay_alu instid0(VALU_DEP_3) | instskip(NEXT) | instid1(VALU_DEP_3)
	v_fma_f64 v[80:81], v[52:53], s[0:1], v[48:49]
	v_add_f64_e32 v[76:77], v[28:29], v[69:70]
	v_add_f64_e64 v[28:29], v[64:65], -v[69:70]
	v_fma_f64 v[84:85], v[52:53], s[8:9], v[48:49]
	s_delay_alu instid0(VALU_DEP_2)
	v_fma_f64 v[82:83], v[28:29], s[8:9], v[50:51]
	v_fma_f64 v[86:87], v[28:29], s[0:1], v[50:51]
	scratch_load_b32 v28, off, off offset:516 th:TH_LOAD_LU ; 4-byte Folded Reload
	s_wait_loadcnt 0x0
	ds_store_b128 v28, v[0:3]
	ds_store_b128 v28, v[4:7] offset:768
	ds_store_b128 v28, v[8:11] offset:1536
	scratch_load_b32 v0, off, off offset:520 th:TH_LOAD_LU ; 4-byte Folded Reload
	s_wait_loadcnt 0x0
	ds_store_b128 v0, v[12:15]
	ds_store_b128 v0, v[16:19] offset:768
	ds_store_b128 v0, v[32:35] offset:1536
	;; [unrolled: 5-line block ×5, first 2 shown]
	global_wb scope:SCOPE_SE
	s_wait_dscnt 0x0
	s_barrier_signal -1
	s_barrier_wait -1
	global_inv scope:SCOPE_SE
	ds_load_b128 v[92:95], v66
	ds_load_b128 v[88:91], v66 offset:896
	ds_load_b128 v[152:155], v66 offset:2304
	ds_load_b128 v[112:115], v66 offset:3200
	ds_load_b128 v[156:159], v66 offset:4608
	ds_load_b128 v[116:119], v66 offset:5504
	ds_load_b128 v[104:107], v66 offset:6912
	ds_load_b128 v[96:99], v66 offset:7808
	ds_load_b128 v[108:111], v66 offset:9216
	ds_load_b128 v[100:103], v66 offset:10112
	ds_load_b128 v[160:163], v66 offset:11520
	ds_load_b128 v[132:135], v66 offset:12416
	ds_load_b128 v[164:167], v66 offset:13824
	ds_load_b128 v[148:151], v66 offset:14720
	s_and_saveexec_b32 s0, vcc_lo
	s_cbranch_execz .LBB0_7
; %bb.6:
	ds_load_b128 v[72:75], v66 offset:1792
	ds_load_b128 v[76:79], v66 offset:4096
	;; [unrolled: 1-line block ×7, first 2 shown]
.LBB0_7:
	s_wait_alu 0xfffe
	s_or_b32 exec_lo, exec_lo, s0
	s_wait_dscnt 0xb
	v_mul_f64_e32 v[0:1], v[182:183], v[154:155]
	v_mul_f64_e32 v[2:3], v[182:183], v[152:153]
	s_wait_dscnt 0x9
	v_mul_f64_e32 v[4:5], v[190:191], v[158:159]
	v_mul_f64_e32 v[6:7], v[190:191], v[156:157]
	;; [unrolled: 3-line block ×3, first 2 shown]
	v_mul_f64_e32 v[12:13], v[198:199], v[162:163]
	v_mul_f64_e32 v[14:15], v[198:199], v[160:161]
	;; [unrolled: 1-line block ×6, first 2 shown]
	s_wait_dscnt 0x0
	v_mul_f64_e32 v[24:25], v[210:211], v[150:151]
	v_mul_f64_e32 v[26:27], v[210:211], v[148:149]
	;; [unrolled: 1-line block ×12, first 2 shown]
	s_mov_b32 s12, 0x37e14327
	s_mov_b32 s14, 0xe976ee23
	;; [unrolled: 1-line block ×14, first 2 shown]
	v_fma_f64 v[0:1], v[180:181], v[152:153], v[0:1]
	v_fma_f64 v[2:3], v[180:181], v[154:155], -v[2:3]
	v_fma_f64 v[4:5], v[188:189], v[156:157], v[4:5]
	v_fma_f64 v[6:7], v[188:189], v[158:159], -v[6:7]
	;; [unrolled: 2-line block ×12, first 2 shown]
	s_mov_b32 s19, 0xbfe77f67
	s_wait_alu 0xfffe
	s_mov_b32 s18, s16
	s_mov_b32 s23, 0x3fd5d0dc
	;; [unrolled: 1-line block ×5, first 2 shown]
	v_add_f64_e32 v[48:49], v[0:1], v[8:9]
	v_add_f64_e32 v[50:51], v[2:3], v[10:11]
	;; [unrolled: 1-line block ×4, first 2 shown]
	v_add_f64_e64 v[4:5], v[4:5], -v[12:13]
	v_add_f64_e64 v[6:7], v[6:7], -v[14:15]
	v_add_f64_e64 v[8:9], v[0:1], -v[8:9]
	v_add_f64_e64 v[10:11], v[2:3], -v[10:11]
	v_add_f64_e32 v[56:57], v[16:17], v[24:25]
	v_add_f64_e32 v[58:59], v[18:19], v[26:27]
	;; [unrolled: 1-line block ×4, first 2 shown]
	v_add_f64_e64 v[20:21], v[20:21], -v[28:29]
	v_add_f64_e64 v[22:23], v[22:23], -v[30:31]
	v_add_f64_e32 v[64:65], v[32:33], v[36:37]
	v_add_f64_e32 v[67:68], v[34:35], v[38:39]
	v_add_f64_e64 v[12:13], v[36:37], -v[32:33]
	v_add_f64_e64 v[14:15], v[38:39], -v[34:35]
	v_add_f64_e32 v[28:29], v[40:41], v[44:45]
	v_add_f64_e32 v[30:31], v[42:43], v[46:47]
	v_add_f64_e64 v[32:33], v[44:45], -v[40:41]
	v_add_f64_e64 v[34:35], v[46:47], -v[42:43]
	v_add_f64_e64 v[16:17], v[16:17], -v[24:25]
	v_add_f64_e64 v[18:19], v[18:19], -v[26:27]
	v_add_f64_e32 v[0:1], v[52:53], v[48:49]
	v_add_f64_e32 v[2:3], v[54:55], v[50:51]
	v_add_f64_e64 v[69:70], v[4:5], -v[8:9]
	v_add_f64_e64 v[96:97], v[6:7], -v[10:11]
	v_add_f64_e32 v[24:25], v[60:61], v[56:57]
	v_add_f64_e32 v[26:27], v[62:63], v[58:59]
	v_add_f64_e64 v[36:37], v[48:49], -v[64:65]
	v_add_f64_e64 v[38:39], v[50:51], -v[67:68]
	;; [unrolled: 1-line block ×14, first 2 shown]
	v_add_f64_e32 v[52:53], v[12:13], v[4:5]
	v_add_f64_e32 v[54:55], v[14:15], v[6:7]
	v_add_f64_e64 v[12:13], v[8:9], -v[12:13]
	v_add_f64_e64 v[14:15], v[10:11], -v[14:15]
	v_add_f64_e32 v[20:21], v[32:33], v[20:21]
	v_add_f64_e32 v[22:23], v[34:35], v[22:23]
	v_add_f64_e64 v[32:33], v[16:17], -v[32:33]
	v_add_f64_e64 v[34:35], v[18:19], -v[34:35]
	;; [unrolled: 1-line block ×4, first 2 shown]
	v_add_f64_e32 v[64:65], v[64:65], v[0:1]
	v_add_f64_e32 v[67:68], v[67:68], v[2:3]
	v_mul_f64_e32 v[114:115], s[0:1], v[69:70]
	v_mul_f64_e32 v[116:117], s[0:1], v[96:97]
	v_add_f64_e32 v[24:25], v[28:29], v[24:25]
	v_add_f64_e32 v[26:27], v[30:31], v[26:27]
	v_add_f64_e64 v[28:29], v[28:29], -v[60:61]
	v_add_f64_e64 v[30:31], v[30:31], -v[62:63]
	v_mul_f64_e32 v[36:37], s[12:13], v[36:37]
	v_mul_f64_e32 v[38:39], s[12:13], v[38:39]
	;; [unrolled: 1-line block ×6, first 2 shown]
	v_add_f64_e32 v[8:9], v[52:53], v[8:9]
	v_add_f64_e32 v[10:11], v[54:55], v[10:11]
	;; [unrolled: 1-line block ×6, first 2 shown]
	v_mul_f64_e32 v[92:93], s[12:13], v[98:99]
	v_mul_f64_e32 v[94:95], s[12:13], v[100:101]
	;; [unrolled: 1-line block ×6, first 2 shown]
	v_add_f64_e32 v[4:5], v[88:89], v[24:25]
	v_add_f64_e32 v[6:7], v[90:91], v[26:27]
	v_mul_f64_e32 v[60:61], s[8:9], v[28:29]
	v_mul_f64_e32 v[62:63], s[8:9], v[30:31]
	v_fma_f64 v[20:21], v[40:41], s[8:9], v[36:37]
	v_fma_f64 v[22:23], v[42:43], s[8:9], v[38:39]
	v_fma_f64 v[40:41], v[48:49], s[16:17], -v[110:111]
	v_fma_f64 v[42:43], v[50:51], s[16:17], -v[112:113]
	v_fma_f64 v[52:53], v[12:13], s[20:21], v[44:45]
	v_fma_f64 v[54:55], v[14:15], s[20:21], v[46:47]
	s_wait_alu 0xfffe
	v_fma_f64 v[36:37], v[48:49], s[18:19], -v[36:37]
	v_fma_f64 v[38:39], v[50:51], s[18:19], -v[38:39]
	;; [unrolled: 1-line block ×6, first 2 shown]
	v_fma_f64 v[64:65], v[64:65], s[10:11], v[0:1]
	v_fma_f64 v[67:68], v[67:68], s[10:11], v[2:3]
	;; [unrolled: 1-line block ×6, first 2 shown]
	v_fma_f64 v[69:70], v[106:107], s[0:1], -v[98:99]
	v_fma_f64 v[88:89], v[108:109], s[0:1], -v[100:101]
	v_fma_f64 v[24:25], v[24:25], s[10:11], v[4:5]
	v_fma_f64 v[26:27], v[26:27], s[10:11], v[6:7]
	v_fma_f64 v[32:33], v[32:33], s[22:23], -v[102:103]
	v_fma_f64 v[34:35], v[34:35], s[22:23], -v[104:105]
	;; [unrolled: 1-line block ×6, first 2 shown]
	v_fma_f64 v[52:53], v[8:9], s[24:25], v[52:53]
	v_fma_f64 v[54:55], v[10:11], s[24:25], v[54:55]
	v_fma_f64 v[60:61], v[8:9], s[24:25], v[12:13]
	v_fma_f64 v[62:63], v[10:11], s[24:25], v[14:15]
	v_fma_f64 v[44:45], v[8:9], s[24:25], v[44:45]
	v_fma_f64 v[46:47], v[10:11], s[24:25], v[46:47]
	v_add_f64_e32 v[94:95], v[20:21], v[64:65]
	v_add_f64_e32 v[96:97], v[22:23], v[67:68]
	v_add_f64_e32 v[36:37], v[36:37], v[64:65]
	v_add_f64_e32 v[38:39], v[38:39], v[67:68]
	v_add_f64_e32 v[20:21], v[40:41], v[64:65]
	v_add_f64_e32 v[22:23], v[42:43], v[67:68]
	v_fma_f64 v[64:65], v[16:17], s[24:25], v[48:49]
	v_fma_f64 v[67:68], v[18:19], s[24:25], v[50:51]
	v_add_f64_e32 v[98:99], v[28:29], v[24:25]
	v_add_f64_e32 v[100:101], v[30:31], v[26:27]
	v_fma_f64 v[48:49], v[16:17], s[24:25], v[69:70]
	v_fma_f64 v[50:51], v[18:19], s[24:25], v[88:89]
	;; [unrolled: 1-line block ×4, first 2 shown]
	v_add_f64_e32 v[90:91], v[90:91], v[24:25]
	v_add_f64_e32 v[92:93], v[92:93], v[26:27]
	;; [unrolled: 1-line block ×5, first 2 shown]
	v_add_f64_e64 v[10:11], v[96:97], -v[52:53]
	v_add_f64_e32 v[12:13], v[62:63], v[36:37]
	v_add_f64_e64 v[14:15], v[38:39], -v[60:61]
	v_add_f64_e64 v[24:25], v[36:37], -v[62:63]
	v_add_f64_e32 v[26:27], v[60:61], v[38:39]
	v_add_f64_e64 v[16:17], v[20:21], -v[46:47]
	v_add_f64_e32 v[18:19], v[44:45], v[22:23]
	v_add_f64_e32 v[32:33], v[67:68], v[98:99]
	v_add_f64_e64 v[34:35], v[100:101], -v[64:65]
	v_add_f64_e32 v[20:21], v[46:47], v[20:21]
	v_add_f64_e64 v[22:23], v[22:23], -v[44:45]
	v_add_f64_e64 v[28:29], v[94:95], -v[54:55]
	v_add_f64_e32 v[30:31], v[52:53], v[96:97]
	v_add_f64_e32 v[36:37], v[88:89], v[90:91]
	v_add_f64_e64 v[38:39], v[92:93], -v[69:70]
	v_add_f64_e64 v[40:41], v[56:57], -v[50:51]
	v_add_f64_e32 v[42:43], v[48:49], v[58:59]
	;; [unrolled: 4-line block ×3, first 2 shown]
	v_add_f64_e64 v[52:53], v[98:99], -v[67:68]
	v_add_f64_e32 v[54:55], v[64:65], v[100:101]
	ds_store_b128 v66, v[0:3]
	ds_store_b128 v66, v[4:7] offset:896
	ds_store_b128 v66, v[8:11] offset:2304
	;; [unrolled: 1-line block ×13, first 2 shown]
	s_and_saveexec_b32 s26, vcc_lo
	s_cbranch_execz .LBB0_9
; %bb.8:
	s_clause 0x4
	scratch_load_b128 v[32:35], off, off offset:596 th:TH_LOAD_LU
	scratch_load_b128 v[36:39], off, off offset:612 th:TH_LOAD_LU
	scratch_load_b128 v[24:27], off, off offset:564 th:TH_LOAD_LU
	scratch_load_b128 v[28:31], off, off offset:580 th:TH_LOAD_LU
	scratch_load_b128 v[42:45], off, off offset:644 th:TH_LOAD_LU
	s_wait_loadcnt 0x4
	v_mul_f64_e32 v[0:1], v[34:35], v[136:137]
	s_wait_loadcnt 0x3
	v_mul_f64_e32 v[4:5], v[38:39], v[128:129]
	v_mul_f64_e32 v[14:15], v[38:39], v[130:131]
	scratch_load_b128 v[38:41], off, off offset:628 th:TH_LOAD_LU ; 16-byte Folded Reload
	s_wait_loadcnt 0x3
	v_mul_f64_e32 v[2:3], v[26:27], v[76:77]
	s_wait_loadcnt 0x2
	v_mul_f64_e32 v[6:7], v[30:31], v[80:81]
	v_mul_f64_e32 v[8:9], v[26:27], v[78:79]
	;; [unrolled: 1-line block ×4, first 2 shown]
	s_wait_loadcnt 0x1
	v_mul_f64_e32 v[16:17], v[44:45], v[126:127]
	v_mul_f64_e32 v[22:23], v[44:45], v[124:125]
	v_fma_f64 v[0:1], v[32:33], v[138:139], -v[0:1]
	v_fma_f64 v[4:5], v[36:37], v[130:131], -v[4:5]
	v_fma_f64 v[14:15], v[36:37], v[128:129], v[14:15]
	v_fma_f64 v[2:3], v[24:25], v[78:79], -v[2:3]
	v_fma_f64 v[6:7], v[28:29], v[82:83], -v[6:7]
	v_fma_f64 v[8:9], v[24:25], v[76:77], v[8:9]
	v_fma_f64 v[10:11], v[32:33], v[136:137], v[10:11]
	;; [unrolled: 1-line block ×4, first 2 shown]
	v_fma_f64 v[22:23], v[42:43], v[126:127], -v[22:23]
	v_add_f64_e32 v[24:25], v[2:3], v[0:1]
	v_add_f64_e32 v[26:27], v[6:7], v[4:5]
	v_add_f64_e64 v[4:5], v[6:7], -v[4:5]
	v_add_f64_e32 v[28:29], v[8:9], v[10:11]
	v_add_f64_e32 v[30:31], v[12:13], v[14:15]
	v_add_f64_e64 v[12:13], v[12:13], -v[14:15]
	v_add_f64_e64 v[8:9], v[8:9], -v[10:11]
	v_add_f64_e64 v[6:7], v[2:3], -v[0:1]
	v_add_f64_e32 v[10:11], v[26:27], v[24:25]
	v_add_f64_e32 v[0:1], v[30:31], v[28:29]
	s_delay_alu instid0(VALU_DEP_4) | instskip(NEXT) | instid1(VALU_DEP_1)
	v_add_f64_e64 v[34:35], v[12:13], -v[8:9]
	v_mul_f64_e32 v[44:45], s[0:1], v[34:35]
	s_wait_loadcnt 0x0
	v_mul_f64_e32 v[18:19], v[40:41], v[86:87]
	v_mul_f64_e32 v[20:21], v[40:41], v[84:85]
	s_delay_alu instid0(VALU_DEP_2) | instskip(NEXT) | instid1(VALU_DEP_2)
	v_fma_f64 v[18:19], v[38:39], v[84:85], v[18:19]
	v_fma_f64 v[20:21], v[38:39], v[86:87], -v[20:21]
	v_add_f64_e64 v[38:39], v[4:5], -v[6:7]
	s_delay_alu instid0(VALU_DEP_3) | instskip(NEXT) | instid1(VALU_DEP_3)
	v_add_f64_e64 v[32:33], v[16:17], -v[18:19]
	v_add_f64_e32 v[14:15], v[20:21], v[22:23]
	v_add_f64_e32 v[16:17], v[18:19], v[16:17]
	v_add_f64_e64 v[18:19], v[22:23], -v[20:21]
	v_mul_f64_e32 v[46:47], s[0:1], v[38:39]
	v_add_f64_e64 v[2:3], v[32:33], -v[12:13]
	v_add_f64_e64 v[20:21], v[24:25], -v[14:15]
	;; [unrolled: 1-line block ×3, first 2 shown]
	v_add_f64_e32 v[10:11], v[14:15], v[10:11]
	v_add_f64_e64 v[14:15], v[14:15], -v[26:27]
	v_add_f64_e64 v[36:37], v[18:19], -v[4:5]
	v_add_f64_e32 v[40:41], v[16:17], v[0:1]
	v_add_f64_e64 v[16:17], v[16:17], -v[30:31]
	v_add_f64_e64 v[42:43], v[8:9], -v[32:33]
	v_add_f64_e32 v[12:13], v[32:33], v[12:13]
	v_add_f64_e32 v[4:5], v[18:19], v[4:5]
	v_add_f64_e64 v[18:19], v[6:7], -v[18:19]
	v_add_f64_e64 v[24:25], v[26:27], -v[24:25]
	;; [unrolled: 1-line block ×3, first 2 shown]
	v_mul_f64_e32 v[32:33], s[14:15], v[2:3]
	v_mul_f64_e32 v[20:21], s[12:13], v[20:21]
	;; [unrolled: 1-line block ×3, first 2 shown]
	v_add_f64_e32 v[2:3], v[74:75], v[10:11]
	v_mul_f64_e32 v[26:27], s[8:9], v[14:15]
	v_mul_f64_e32 v[36:37], s[14:15], v[36:37]
	v_add_f64_e32 v[0:1], v[72:73], v[40:41]
	v_mul_f64_e32 v[30:31], s[8:9], v[16:17]
	v_add_f64_e32 v[8:9], v[12:13], v[8:9]
	v_add_f64_e32 v[4:5], v[4:5], v[6:7]
	v_fma_f64 v[6:7], v[42:43], s[20:21], v[32:33]
	v_fma_f64 v[12:13], v[14:15], s[8:9], v[20:21]
	v_fma_f64 v[14:15], v[16:17], s[8:9], v[22:23]
	v_fma_f64 v[16:17], v[42:43], s[22:23], -v[44:45]
	v_fma_f64 v[32:33], v[34:35], s[0:1], -v[32:33]
	v_fma_f64 v[10:11], v[10:11], s[10:11], v[2:3]
	v_fma_f64 v[20:21], v[24:25], s[18:19], -v[20:21]
	v_fma_f64 v[24:25], v[24:25], s[16:17], -v[26:27]
	v_fma_f64 v[26:27], v[18:19], s[20:21], v[36:37]
	;; [unrolled: 3-line block ×4, first 2 shown]
	v_fma_f64 v[16:17], v[8:9], s[24:25], v[16:17]
	v_fma_f64 v[8:9], v[8:9], s[24:25], v[32:33]
	v_add_f64_e32 v[12:13], v[12:13], v[10:11]
	v_add_f64_e32 v[20:21], v[20:21], v[10:11]
	;; [unrolled: 1-line block ×3, first 2 shown]
	v_fma_f64 v[32:33], v[4:5], s[24:25], v[26:27]
	v_fma_f64 v[38:39], v[4:5], s[24:25], v[18:19]
	;; [unrolled: 1-line block ×3, first 2 shown]
	v_add_f64_e32 v[34:35], v[14:15], v[36:37]
	v_add_f64_e32 v[40:41], v[22:23], v[36:37]
	;; [unrolled: 1-line block ×3, first 2 shown]
	v_add_f64_e64 v[26:27], v[12:13], -v[30:31]
	v_add_f64_e32 v[10:11], v[16:17], v[20:21]
	v_add_f64_e64 v[14:15], v[24:25], -v[8:9]
	v_add_f64_e32 v[18:19], v[8:9], v[24:25]
	;; [unrolled: 2-line block ×3, first 2 shown]
	v_add_f64_e32 v[24:25], v[32:33], v[34:35]
	v_add_f64_e32 v[20:21], v[38:39], v[40:41]
	v_add_f64_e64 v[16:17], v[28:29], -v[4:5]
	v_add_f64_e32 v[12:13], v[4:5], v[28:29]
	v_add_f64_e64 v[8:9], v[40:41], -v[38:39]
	v_add_f64_e64 v[4:5], v[34:35], -v[32:33]
	ds_store_b128 v66, v[0:3] offset:1792
	ds_store_b128 v66, v[24:27] offset:4096
	;; [unrolled: 1-line block ×7, first 2 shown]
.LBB0_9:
	s_wait_alu 0xfffe
	s_or_b32 exec_lo, exec_lo, s26
	global_wb scope:SCOPE_SE
	s_wait_dscnt 0x0
	s_barrier_signal -1
	s_barrier_wait -1
	global_inv scope:SCOPE_SE
	ds_load_b128 v[0:3], v66
	ds_load_b128 v[4:7], v66 offset:8064
	ds_load_b128 v[8:11], v66 offset:896
	;; [unrolled: 1-line block ×3, first 2 shown]
	scratch_load_b64 v[16:17], off, off offset:4 th:TH_LOAD_LU ; 8-byte Folded Reload
	s_mov_b32 s0, 0x10410410
	s_mov_b32 s1, 0x3f504104
	s_mul_u64 s[8:9], s[4:5], 0x1f80
	s_movk_i32 s10, 0xe400
	s_mov_b32 s11, -1
	s_wait_loadcnt 0x0
	v_mov_b32_e32 v77, v16
	ds_load_b128 v[16:19], v66 offset:9856
	ds_load_b128 v[20:23], v66 offset:7168
	s_clause 0x1
	scratch_load_b128 v[99:102], off, off offset:36 th:TH_LOAD_LU
	scratch_load_b32 v98, off, off th:TH_LOAD_LU
	ds_load_b128 v[24:27], v66 offset:1792
	ds_load_b128 v[28:31], v66 offset:2688
	v_mad_co_u64_u32 v[56:57], null, s6, v77, 0
	s_wait_loadcnt_dscnt 0x107
	v_mul_f64_e32 v[58:59], v[101:102], v[2:3]
	v_mul_f64_e32 v[60:61], v[101:102], v[0:1]
	scratch_load_b128 v[101:104], off, off offset:84 th:TH_LOAD_LU ; 16-byte Folded Reload
	s_wait_loadcnt 0x1
	v_mad_co_u64_u32 v[75:76], null, s4, v98, 0
	v_mad_co_u64_u32 v[77:78], null, s7, v77, v[57:58]
	v_fma_f64 v[58:59], v[99:100], v[0:1], v[58:59]
	v_fma_f64 v[60:61], v[99:100], v[2:3], -v[60:61]
	s_wait_alu 0xfffe
	s_mul_u64 s[6:7], s[4:5], s[10:11]
	s_delay_alu instid0(VALU_DEP_3) | instskip(SKIP_1) | instid1(VALU_DEP_2)
	v_mov_b32_e32 v57, v77
	v_mad_co_u64_u32 v[98:99], null, s5, v98, v[76:77]
	v_lshlrev_b64_e32 v[56:57], 4, v[56:57]
	s_delay_alu instid0(VALU_DEP_2) | instskip(NEXT) | instid1(VALU_DEP_1)
	v_mov_b32_e32 v76, v98
	v_lshlrev_b64_e32 v[75:76], 4, v[75:76]
	s_wait_loadcnt_dscnt 0x6
	v_mul_f64_e32 v[62:63], v[103:104], v[6:7]
	v_mul_f64_e32 v[64:65], v[103:104], v[4:5]
	scratch_load_b128 v[103:106], off, off offset:100 th:TH_LOAD_LU ; 16-byte Folded Reload
	v_fma_f64 v[62:63], v[101:102], v[4:5], v[62:63]
	v_fma_f64 v[64:65], v[101:102], v[6:7], -v[64:65]
	s_wait_loadcnt_dscnt 0x5
	v_mul_f64_e32 v[67:68], v[105:106], v[10:11]
	v_mul_f64_e32 v[69:70], v[105:106], v[8:9]
	scratch_load_b128 v[105:108], off, off offset:116 th:TH_LOAD_LU ; 16-byte Folded Reload
	ds_load_b128 v[32:35], v66 offset:10752
	ds_load_b128 v[36:39], v66 offset:3584
	;; [unrolled: 1-line block ×6, first 2 shown]
	s_clause 0x3
	scratch_load_b128 v[117:120], off, off offset:260 th:TH_LOAD_LU
	scratch_load_b128 v[111:114], off, off offset:228 th:TH_LOAD_LU
	;; [unrolled: 1-line block ×4, first 2 shown]
	v_fma_f64 v[67:68], v[103:104], v[8:9], v[67:68]
	v_fma_f64 v[69:70], v[103:104], v[10:11], -v[69:70]
	s_wait_loadcnt_dscnt 0x40a
	v_mul_f64_e32 v[71:72], v[107:108], v[14:15]
	v_mul_f64_e32 v[73:74], v[107:108], v[12:13]
	s_wait_loadcnt_dscnt 0x307
	v_mul_f64_e32 v[78:79], v[119:120], v[26:27]
	s_wait_loadcnt 0x2
	v_mul_f64_e32 v[82:83], v[113:114], v[18:19]
	v_mul_f64_e32 v[84:85], v[113:114], v[16:17]
	scratch_load_b128 v[113:116], off, off offset:244 th:TH_LOAD_LU ; 16-byte Folded Reload
	ds_load_b128 v[0:3], v66 offset:5376
	ds_load_b128 v[4:7], v66 offset:6272
	v_mul_f64_e32 v[80:81], v[119:120], v[24:25]
	s_wait_loadcnt_dscnt 0x207
	v_mul_f64_e32 v[90:91], v[137:138], v[34:35]
	v_mul_f64_e32 v[92:93], v[137:138], v[32:33]
	v_add_co_u32 v119, vcc_lo, s2, v56
	s_wait_alu 0xfffd
	v_add_co_ci_u32_e32 v120, vcc_lo, s3, v57, vcc_lo
	s_wait_loadcnt_dscnt 0x106
	v_mul_f64_e32 v[94:95], v[131:132], v[38:39]
	v_mul_f64_e32 v[96:97], v[131:132], v[36:37]
	v_fma_f64 v[71:72], v[105:106], v[12:13], v[71:72]
	v_fma_f64 v[73:74], v[105:106], v[14:15], -v[73:74]
	ds_load_b128 v[8:11], v66 offset:14336
	ds_load_b128 v[12:15], v66 offset:15232
	s_clause 0x2
	scratch_load_b128 v[125:128], off, off offset:164 th:TH_LOAD_LU
	scratch_load_b128 v[121:124], off, off offset:132 th:TH_LOAD_LU
	;; [unrolled: 1-line block ×3, first 2 shown]
	v_fma_f64 v[56:57], v[117:118], v[24:25], v[78:79]
	v_mul_f64_e32 v[24:25], s[0:1], v[62:63]
	v_fma_f64 v[77:78], v[117:118], v[26:27], -v[80:81]
	v_fma_f64 v[79:80], v[111:112], v[16:17], v[82:83]
	v_fma_f64 v[81:82], v[111:112], v[18:19], -v[84:85]
	v_mul_f64_e32 v[16:17], s[0:1], v[58:59]
	v_mul_f64_e32 v[18:19], s[0:1], v[60:61]
	;; [unrolled: 1-line block ×3, first 2 shown]
	s_delay_alu instid0(VALU_DEP_4)
	v_mul_f64_e32 v[58:59], s[0:1], v[81:82]
	s_wait_loadcnt 0x3
	v_mul_f64_e32 v[86:87], v[115:116], v[30:31]
	v_mul_f64_e32 v[88:89], v[115:116], v[28:29]
	s_wait_loadcnt_dscnt 0x207
	v_mul_f64_e32 v[99:100], v[127:128], v[42:43]
	v_mul_f64_e32 v[101:102], v[127:128], v[40:41]
	s_wait_loadcnt_dscnt 0x106
	v_mul_f64_e32 v[103:104], v[123:124], v[46:47]
	v_fma_f64 v[83:84], v[113:114], v[28:29], v[86:87]
	v_fma_f64 v[85:86], v[113:114], v[30:31], -v[88:89]
	v_fma_f64 v[87:88], v[135:136], v[32:33], v[90:91]
	v_mul_f64_e32 v[28:29], s[0:1], v[67:68]
	v_mul_f64_e32 v[30:31], s[0:1], v[69:70]
	v_fma_f64 v[89:90], v[135:136], v[34:35], -v[92:93]
	v_mul_f64_e32 v[32:33], s[0:1], v[71:72]
	v_mul_f64_e32 v[34:35], s[0:1], v[73:74]
	v_add_co_u32 v72, vcc_lo, v119, v75
	s_wait_alu 0xfffd
	v_add_co_ci_u32_e32 v73, vcc_lo, v120, v76, vcc_lo
	v_fma_f64 v[91:92], v[129:130], v[36:37], v[94:95]
	s_delay_alu instid0(VALU_DEP_3) | instskip(SKIP_1) | instid1(VALU_DEP_3)
	v_add_co_u32 v93, vcc_lo, v72, s8
	s_wait_alu 0xfffd
	v_add_co_ci_u32_e32 v94, vcc_lo, s9, v73, vcc_lo
	v_fma_f64 v[70:71], v[129:130], v[38:39], -v[96:97]
	scratch_load_b128 v[127:130], off, off offset:180 th:TH_LOAD_LU ; 16-byte Folded Reload
	s_wait_alu 0xfffe
	v_add_co_u32 v97, vcc_lo, v93, s6
	s_wait_alu 0xfffd
	v_add_co_ci_u32_e32 v98, vcc_lo, s7, v94, vcc_lo
	v_mul_f64_e32 v[36:37], s[0:1], v[56:57]
	s_delay_alu instid0(VALU_DEP_3) | instskip(SKIP_1) | instid1(VALU_DEP_3)
	v_add_co_u32 v113, vcc_lo, v97, s8
	s_wait_alu 0xfffd
	v_add_co_ci_u32_e32 v114, vcc_lo, s9, v98, vcc_lo
	v_mul_f64_e32 v[38:39], s[0:1], v[77:78]
	v_mul_f64_e32 v[56:57], s[0:1], v[79:80]
	v_add_co_u32 v117, vcc_lo, v113, s6
	s_wait_alu 0xfffd
	v_add_co_ci_u32_e32 v118, vcc_lo, s7, v114, vcc_lo
	v_mul_f64_e32 v[105:106], v[123:124], v[44:45]
	s_wait_loadcnt_dscnt 0x105
	v_mul_f64_e32 v[107:108], v[133:134], v[50:51]
	v_mul_f64_e32 v[109:110], v[133:134], v[48:49]
	scratch_load_b128 v[133:136], off, off offset:212 th:TH_LOAD_LU ; 16-byte Folded Reload
	s_clause 0x3
	global_store_b128 v[72:73], v[16:19], off
	global_store_b128 v[93:94], v[24:27], off
	;; [unrolled: 1-line block ×4, first 2 shown]
	v_mul_f64_e32 v[60:61], s[0:1], v[83:84]
	v_mul_f64_e32 v[62:63], s[0:1], v[85:86]
	;; [unrolled: 1-line block ×3, first 2 shown]
	v_fma_f64 v[16:17], v[125:126], v[40:41], v[99:100]
	v_mul_f64_e32 v[66:67], s[0:1], v[89:90]
	v_fma_f64 v[18:19], v[125:126], v[42:43], -v[101:102]
	v_add_co_u32 v40, vcc_lo, v117, s8
	v_mul_f64_e32 v[68:69], s[0:1], v[91:92]
	v_fma_f64 v[42:43], v[121:122], v[44:45], v[103:104]
	s_clause 0x1
	scratch_load_b128 v[97:100], off, off offset:148 th:TH_LOAD_LU
	scratch_load_b128 v[84:87], off, off offset:20 th:TH_LOAD_LU
	v_mul_f64_e32 v[70:71], s[0:1], v[70:71]
	s_wait_alu 0xfffd
	v_add_co_ci_u32_e32 v41, vcc_lo, s9, v118, vcc_lo
	v_add_co_u32 v76, vcc_lo, v40, s6
	s_wait_alu 0xfffd
	s_delay_alu instid0(VALU_DEP_2) | instskip(NEXT) | instid1(VALU_DEP_2)
	v_add_co_ci_u32_e32 v77, vcc_lo, s7, v41, vcc_lo
	v_add_co_u32 v78, vcc_lo, v76, s8
	s_wait_alu 0xfffd
	s_delay_alu instid0(VALU_DEP_2) | instskip(NEXT) | instid1(VALU_DEP_2)
	v_add_co_ci_u32_e32 v79, vcc_lo, s9, v77, vcc_lo
	v_add_co_u32 v82, vcc_lo, v78, s6
	s_wait_alu 0xfffd
	s_delay_alu instid0(VALU_DEP_2)
	v_add_co_ci_u32_e32 v83, vcc_lo, s7, v79, vcc_lo
	v_fma_f64 v[46:47], v[121:122], v[46:47], -v[105:106]
	v_fma_f64 v[48:49], v[131:132], v[48:49], v[107:108]
	v_fma_f64 v[50:51], v[131:132], v[50:51], -v[109:110]
	s_wait_loadcnt_dscnt 0x304
	v_mul_f64_e32 v[115:116], v[129:130], v[52:53]
	v_mul_f64_e32 v[111:112], v[129:130], v[54:55]
	s_wait_loadcnt_dscnt 0x203
	v_mul_f64_e32 v[95:96], v[135:136], v[0:1]
	v_mul_f64_e32 v[74:75], v[135:136], v[2:3]
	s_wait_loadcnt_dscnt 0x102
	v_mul_f64_e32 v[24:25], v[99:100], v[6:7]
	s_wait_loadcnt_dscnt 0x1
	v_mul_f64_e32 v[28:29], v[86:87], v[10:11]
	v_mul_f64_e32 v[30:31], v[86:87], v[8:9]
	scratch_load_b128 v[86:89], off, off offset:52 th:TH_LOAD_LU ; 16-byte Folded Reload
	v_fma_f64 v[54:55], v[127:128], v[54:55], -v[115:116]
	v_mul_f64_e32 v[26:27], v[99:100], v[4:5]
	v_fma_f64 v[52:53], v[127:128], v[52:53], v[111:112]
	v_fma_f64 v[80:81], v[133:134], v[2:3], -v[95:96]
	v_mul_f64_e32 v[2:3], s[0:1], v[18:19]
	v_fma_f64 v[74:75], v[133:134], v[0:1], v[74:75]
	v_mul_f64_e32 v[0:1], s[0:1], v[16:17]
	v_fma_f64 v[24:25], v[97:98], v[4:5], v[24:25]
	v_fma_f64 v[28:29], v[84:85], v[8:9], v[28:29]
	v_fma_f64 v[30:31], v[84:85], v[10:11], -v[30:31]
	v_mul_f64_e32 v[4:5], s[0:1], v[42:43]
	v_mul_f64_e32 v[18:19], s[0:1], v[54:55]
	v_fma_f64 v[26:27], v[97:98], v[6:7], -v[26:27]
	v_mul_f64_e32 v[6:7], s[0:1], v[46:47]
	v_mul_f64_e32 v[8:9], s[0:1], v[48:49]
	;; [unrolled: 1-line block ×4, first 2 shown]
	s_wait_loadcnt 0x0
	v_mul_f64_e32 v[32:33], v[88:89], v[22:23]
	v_mul_f64_e32 v[34:35], v[88:89], v[20:21]
	scratch_load_b128 v[88:91], off, off offset:68 th:TH_LOAD_LU ; 16-byte Folded Reload
	global_store_b128 v[117:118], v[36:39], off
	global_store_b128 v[40:41], v[56:59], off
	;; [unrolled: 1-line block ×5, first 2 shown]
	v_add_co_u32 v36, vcc_lo, v82, s8
	s_clause 0x1
	scratch_load_b32 v54, off, off offset:12 th:TH_LOAD_LU
	scratch_load_b32 v55, off, off offset:16 th:TH_LOAD_LU
	s_wait_alu 0xfffd
	v_add_co_ci_u32_e32 v37, vcc_lo, s9, v83, vcc_lo
	v_add_co_u32 v42, vcc_lo, v36, s6
	s_wait_alu 0xfffd
	s_delay_alu instid0(VALU_DEP_2)
	v_add_co_ci_u32_e32 v43, vcc_lo, s7, v37, vcc_lo
	v_fma_f64 v[32:33], v[86:87], v[20:21], v[32:33]
	v_fma_f64 v[34:35], v[86:87], v[22:23], -v[34:35]
	v_mul_f64_e32 v[20:21], s[0:1], v[24:25]
	v_mul_f64_e32 v[22:23], s[0:1], v[26:27]
	;; [unrolled: 1-line block ×6, first 2 shown]
	s_wait_loadcnt_dscnt 0x200
	v_mul_f64_e32 v[44:45], v[90:91], v[14:15]
	v_mul_f64_e32 v[72:73], v[90:91], v[12:13]
	s_wait_loadcnt 0x1
	v_mad_co_u64_u32 v[48:49], null, s4, v54, 0
	s_wait_loadcnt 0x0
	v_mad_co_u64_u32 v[52:53], null, s4, v55, 0
	s_delay_alu instid0(VALU_DEP_4) | instskip(NEXT) | instid1(VALU_DEP_4)
	v_fma_f64 v[38:39], v[88:89], v[12:13], v[44:45]
	v_fma_f64 v[40:41], v[88:89], v[14:15], -v[72:73]
	v_add_co_u32 v44, vcc_lo, v42, s8
	v_mul_f64_e32 v[12:13], s[0:1], v[74:75]
	v_mul_f64_e32 v[14:15], s[0:1], v[80:81]
	s_wait_alu 0xfffd
	v_add_co_ci_u32_e32 v45, vcc_lo, s9, v43, vcc_lo
	v_add_co_u32 v46, vcc_lo, v44, s6
	global_store_b128 v[36:37], v[0:3], off
	global_store_b128 v[42:43], v[4:7], off
	;; [unrolled: 1-line block ×3, first 2 shown]
	s_wait_alu 0xfffd
	v_add_co_ci_u32_e32 v47, vcc_lo, s7, v45, vcc_lo
	v_add_co_u32 v50, vcc_lo, v46, s8
	s_wait_alu 0xfffd
	s_delay_alu instid0(VALU_DEP_2)
	v_add_co_ci_u32_e32 v51, vcc_lo, s9, v47, vcc_lo
	global_store_b128 v[46:47], v[12:15], off
	global_store_b128 v[50:51], v[16:19], off
	v_mul_f64_e32 v[32:33], s[0:1], v[38:39]
	v_mul_f64_e32 v[34:35], s[0:1], v[40:41]
	v_add_co_u32 v38, vcc_lo, v50, s6
	v_mad_co_u64_u32 v[40:41], null, s5, v54, v[49:50]
	v_mad_co_u64_u32 v[53:54], null, s5, v55, v[53:54]
	s_wait_alu 0xfffd
	v_add_co_ci_u32_e32 v39, vcc_lo, s7, v51, vcc_lo
	s_delay_alu instid0(VALU_DEP_3) | instskip(NEXT) | instid1(VALU_DEP_2)
	v_mov_b32_e32 v49, v40
	v_mad_co_u64_u32 v[54:55], null, 0x2300, s4, v[38:39]
	s_delay_alu instid0(VALU_DEP_4) | instskip(NEXT) | instid1(VALU_DEP_3)
	v_lshlrev_b64_e32 v[3:4], 4, v[52:53]
	v_lshlrev_b64_e32 v[1:2], 4, v[48:49]
	s_delay_alu instid0(VALU_DEP_3) | instskip(NEXT) | instid1(VALU_DEP_1)
	v_mov_b32_e32 v0, v55
	v_mad_co_u64_u32 v[5:6], null, 0x2300, s5, v[0:1]
	v_add_co_u32 v0, vcc_lo, v119, v1
	s_wait_alu 0xfffd
	s_delay_alu instid0(VALU_DEP_4)
	v_add_co_ci_u32_e32 v1, vcc_lo, v120, v2, vcc_lo
	v_add_co_u32 v2, vcc_lo, v119, v3
	s_wait_alu 0xfffd
	v_add_co_ci_u32_e32 v3, vcc_lo, v120, v4, vcc_lo
	v_mov_b32_e32 v55, v5
	global_store_b128 v[38:39], v[20:23], off
	s_clause 0x1
	global_store_b128 v[0:1], v[24:27], off
	global_store_b128 v[2:3], v[28:31], off
	;; [unrolled: 1-line block ×3, first 2 shown]
.LBB0_10:
	s_nop 0
	s_sendmsg sendmsg(MSG_DEALLOC_VGPRS)
	s_endpgm
	.section	.rodata,"a",@progbits
	.p2align	6, 0x0
	.amdhsa_kernel bluestein_single_back_len1008_dim1_dp_op_CI_CI
		.amdhsa_group_segment_fixed_size 16128
		.amdhsa_private_segment_fixed_size 664
		.amdhsa_kernarg_size 104
		.amdhsa_user_sgpr_count 2
		.amdhsa_user_sgpr_dispatch_ptr 0
		.amdhsa_user_sgpr_queue_ptr 0
		.amdhsa_user_sgpr_kernarg_segment_ptr 1
		.amdhsa_user_sgpr_dispatch_id 0
		.amdhsa_user_sgpr_private_segment_size 0
		.amdhsa_wavefront_size32 1
		.amdhsa_uses_dynamic_stack 0
		.amdhsa_enable_private_segment 1
		.amdhsa_system_sgpr_workgroup_id_x 1
		.amdhsa_system_sgpr_workgroup_id_y 0
		.amdhsa_system_sgpr_workgroup_id_z 0
		.amdhsa_system_sgpr_workgroup_info 0
		.amdhsa_system_vgpr_workitem_id 0
		.amdhsa_next_free_vgpr 256
		.amdhsa_next_free_sgpr 28
		.amdhsa_reserve_vcc 1
		.amdhsa_float_round_mode_32 0
		.amdhsa_float_round_mode_16_64 0
		.amdhsa_float_denorm_mode_32 3
		.amdhsa_float_denorm_mode_16_64 3
		.amdhsa_fp16_overflow 0
		.amdhsa_workgroup_processor_mode 1
		.amdhsa_memory_ordered 1
		.amdhsa_forward_progress 0
		.amdhsa_round_robin_scheduling 0
		.amdhsa_exception_fp_ieee_invalid_op 0
		.amdhsa_exception_fp_denorm_src 0
		.amdhsa_exception_fp_ieee_div_zero 0
		.amdhsa_exception_fp_ieee_overflow 0
		.amdhsa_exception_fp_ieee_underflow 0
		.amdhsa_exception_fp_ieee_inexact 0
		.amdhsa_exception_int_div_zero 0
	.end_amdhsa_kernel
	.text
.Lfunc_end0:
	.size	bluestein_single_back_len1008_dim1_dp_op_CI_CI, .Lfunc_end0-bluestein_single_back_len1008_dim1_dp_op_CI_CI
                                        ; -- End function
	.section	.AMDGPU.csdata,"",@progbits
; Kernel info:
; codeLenInByte = 26516
; NumSgprs: 30
; NumVgprs: 256
; ScratchSize: 664
; MemoryBound: 0
; FloatMode: 240
; IeeeMode: 1
; LDSByteSize: 16128 bytes/workgroup (compile time only)
; SGPRBlocks: 3
; VGPRBlocks: 31
; NumSGPRsForWavesPerEU: 30
; NumVGPRsForWavesPerEU: 256
; Occupancy: 4
; WaveLimiterHint : 1
; COMPUTE_PGM_RSRC2:SCRATCH_EN: 1
; COMPUTE_PGM_RSRC2:USER_SGPR: 2
; COMPUTE_PGM_RSRC2:TRAP_HANDLER: 0
; COMPUTE_PGM_RSRC2:TGID_X_EN: 1
; COMPUTE_PGM_RSRC2:TGID_Y_EN: 0
; COMPUTE_PGM_RSRC2:TGID_Z_EN: 0
; COMPUTE_PGM_RSRC2:TIDIG_COMP_CNT: 0
	.text
	.p2alignl 7, 3214868480
	.fill 96, 4, 3214868480
	.type	__hip_cuid_2116c1c0dd3a2f6d,@object ; @__hip_cuid_2116c1c0dd3a2f6d
	.section	.bss,"aw",@nobits
	.globl	__hip_cuid_2116c1c0dd3a2f6d
__hip_cuid_2116c1c0dd3a2f6d:
	.byte	0                               ; 0x0
	.size	__hip_cuid_2116c1c0dd3a2f6d, 1

	.ident	"AMD clang version 19.0.0git (https://github.com/RadeonOpenCompute/llvm-project roc-6.4.0 25133 c7fe45cf4b819c5991fe208aaa96edf142730f1d)"
	.section	".note.GNU-stack","",@progbits
	.addrsig
	.addrsig_sym __hip_cuid_2116c1c0dd3a2f6d
	.amdgpu_metadata
---
amdhsa.kernels:
  - .args:
      - .actual_access:  read_only
        .address_space:  global
        .offset:         0
        .size:           8
        .value_kind:     global_buffer
      - .actual_access:  read_only
        .address_space:  global
        .offset:         8
        .size:           8
        .value_kind:     global_buffer
      - .actual_access:  read_only
        .address_space:  global
        .offset:         16
        .size:           8
        .value_kind:     global_buffer
      - .actual_access:  read_only
        .address_space:  global
        .offset:         24
        .size:           8
        .value_kind:     global_buffer
      - .actual_access:  read_only
        .address_space:  global
        .offset:         32
        .size:           8
        .value_kind:     global_buffer
      - .offset:         40
        .size:           8
        .value_kind:     by_value
      - .address_space:  global
        .offset:         48
        .size:           8
        .value_kind:     global_buffer
      - .address_space:  global
        .offset:         56
        .size:           8
        .value_kind:     global_buffer
      - .address_space:  global
        .offset:         64
        .size:           8
        .value_kind:     global_buffer
      - .address_space:  global
        .offset:         72
        .size:           8
        .value_kind:     global_buffer
      - .offset:         80
        .size:           4
        .value_kind:     by_value
      - .address_space:  global
        .offset:         88
        .size:           8
        .value_kind:     global_buffer
      - .address_space:  global
        .offset:         96
        .size:           8
        .value_kind:     global_buffer
    .group_segment_fixed_size: 16128
    .kernarg_segment_align: 8
    .kernarg_segment_size: 104
    .language:       OpenCL C
    .language_version:
      - 2
      - 0
    .max_flat_workgroup_size: 56
    .name:           bluestein_single_back_len1008_dim1_dp_op_CI_CI
    .private_segment_fixed_size: 664
    .sgpr_count:     30
    .sgpr_spill_count: 0
    .symbol:         bluestein_single_back_len1008_dim1_dp_op_CI_CI.kd
    .uniform_work_group_size: 1
    .uses_dynamic_stack: false
    .vgpr_count:     256
    .vgpr_spill_count: 165
    .wavefront_size: 32
    .workgroup_processor_mode: 1
amdhsa.target:   amdgcn-amd-amdhsa--gfx1201
amdhsa.version:
  - 1
  - 2
...

	.end_amdgpu_metadata
